;; amdgpu-corpus repo=ROCm/rocFFT kind=compiled arch=gfx1201 opt=O3
	.text
	.amdgcn_target "amdgcn-amd-amdhsa--gfx1201"
	.amdhsa_code_object_version 6
	.protected	fft_rtc_fwd_len2023_factors_17_7_17_wgs_119_tpt_119_halfLds_half_ip_CI_unitstride_sbrr_dirReg ; -- Begin function fft_rtc_fwd_len2023_factors_17_7_17_wgs_119_tpt_119_halfLds_half_ip_CI_unitstride_sbrr_dirReg
	.globl	fft_rtc_fwd_len2023_factors_17_7_17_wgs_119_tpt_119_halfLds_half_ip_CI_unitstride_sbrr_dirReg
	.p2align	8
	.type	fft_rtc_fwd_len2023_factors_17_7_17_wgs_119_tpt_119_halfLds_half_ip_CI_unitstride_sbrr_dirReg,@function
fft_rtc_fwd_len2023_factors_17_7_17_wgs_119_tpt_119_halfLds_half_ip_CI_unitstride_sbrr_dirReg: ; @fft_rtc_fwd_len2023_factors_17_7_17_wgs_119_tpt_119_halfLds_half_ip_CI_unitstride_sbrr_dirReg
; %bb.0:
	s_clause 0x2
	s_load_b128 s[4:7], s[0:1], 0x0
	s_load_b64 s[8:9], s[0:1], 0x50
	s_load_b64 s[10:11], s[0:1], 0x18
	v_mul_u32_u24_e32 v1, 0x227, v0
	v_mov_b32_e32 v3, 0
	s_delay_alu instid0(VALU_DEP_2) | instskip(NEXT) | instid1(VALU_DEP_1)
	v_lshrrev_b32_e32 v1, 16, v1
	v_add_nc_u32_e32 v5, ttmp9, v1
	v_mov_b32_e32 v1, 0
	v_mov_b32_e32 v2, 0
	;; [unrolled: 1-line block ×3, first 2 shown]
	s_wait_kmcnt 0x0
	v_cmp_lt_u64_e64 s2, s[6:7], 2
	s_delay_alu instid0(VALU_DEP_1)
	s_and_b32 vcc_lo, exec_lo, s2
	s_cbranch_vccnz .LBB0_8
; %bb.1:
	s_load_b64 s[2:3], s[0:1], 0x10
	v_mov_b32_e32 v1, 0
	v_mov_b32_e32 v2, 0
	s_add_nc_u64 s[12:13], s[10:11], 8
	s_mov_b64 s[14:15], 1
	s_wait_kmcnt 0x0
	s_add_nc_u64 s[16:17], s[2:3], 8
	s_mov_b32 s3, 0
.LBB0_2:                                ; =>This Inner Loop Header: Depth=1
	s_load_b64 s[18:19], s[16:17], 0x0
                                        ; implicit-def: $vgpr7_vgpr8
	s_mov_b32 s2, exec_lo
	s_wait_kmcnt 0x0
	v_or_b32_e32 v4, s19, v6
	s_delay_alu instid0(VALU_DEP_1)
	v_cmpx_ne_u64_e32 0, v[3:4]
	s_wait_alu 0xfffe
	s_xor_b32 s20, exec_lo, s2
	s_cbranch_execz .LBB0_4
; %bb.3:                                ;   in Loop: Header=BB0_2 Depth=1
	s_cvt_f32_u32 s2, s18
	s_cvt_f32_u32 s21, s19
	s_sub_nc_u64 s[24:25], 0, s[18:19]
	s_wait_alu 0xfffe
	s_delay_alu instid0(SALU_CYCLE_1) | instskip(SKIP_1) | instid1(SALU_CYCLE_2)
	s_fmamk_f32 s2, s21, 0x4f800000, s2
	s_wait_alu 0xfffe
	v_s_rcp_f32 s2, s2
	s_delay_alu instid0(TRANS32_DEP_1) | instskip(SKIP_1) | instid1(SALU_CYCLE_2)
	s_mul_f32 s2, s2, 0x5f7ffffc
	s_wait_alu 0xfffe
	s_mul_f32 s21, s2, 0x2f800000
	s_wait_alu 0xfffe
	s_delay_alu instid0(SALU_CYCLE_2) | instskip(SKIP_1) | instid1(SALU_CYCLE_2)
	s_trunc_f32 s21, s21
	s_wait_alu 0xfffe
	s_fmamk_f32 s2, s21, 0xcf800000, s2
	s_cvt_u32_f32 s23, s21
	s_wait_alu 0xfffe
	s_delay_alu instid0(SALU_CYCLE_1) | instskip(SKIP_1) | instid1(SALU_CYCLE_2)
	s_cvt_u32_f32 s22, s2
	s_wait_alu 0xfffe
	s_mul_u64 s[26:27], s[24:25], s[22:23]
	s_wait_alu 0xfffe
	s_mul_hi_u32 s29, s22, s27
	s_mul_i32 s28, s22, s27
	s_mul_hi_u32 s2, s22, s26
	s_mul_i32 s30, s23, s26
	s_wait_alu 0xfffe
	s_add_nc_u64 s[28:29], s[2:3], s[28:29]
	s_mul_hi_u32 s21, s23, s26
	s_mul_hi_u32 s31, s23, s27
	s_add_co_u32 s2, s28, s30
	s_wait_alu 0xfffe
	s_add_co_ci_u32 s2, s29, s21
	s_mul_i32 s26, s23, s27
	s_add_co_ci_u32 s27, s31, 0
	s_wait_alu 0xfffe
	s_add_nc_u64 s[26:27], s[2:3], s[26:27]
	s_wait_alu 0xfffe
	v_add_co_u32 v4, s2, s22, s26
	s_delay_alu instid0(VALU_DEP_1) | instskip(SKIP_1) | instid1(VALU_DEP_1)
	s_cmp_lg_u32 s2, 0
	s_add_co_ci_u32 s23, s23, s27
	v_readfirstlane_b32 s22, v4
	s_wait_alu 0xfffe
	s_delay_alu instid0(VALU_DEP_1)
	s_mul_u64 s[24:25], s[24:25], s[22:23]
	s_wait_alu 0xfffe
	s_mul_hi_u32 s27, s22, s25
	s_mul_i32 s26, s22, s25
	s_mul_hi_u32 s2, s22, s24
	s_mul_i32 s28, s23, s24
	s_wait_alu 0xfffe
	s_add_nc_u64 s[26:27], s[2:3], s[26:27]
	s_mul_hi_u32 s21, s23, s24
	s_mul_hi_u32 s22, s23, s25
	s_wait_alu 0xfffe
	s_add_co_u32 s2, s26, s28
	s_add_co_ci_u32 s2, s27, s21
	s_mul_i32 s24, s23, s25
	s_add_co_ci_u32 s25, s22, 0
	s_wait_alu 0xfffe
	s_add_nc_u64 s[24:25], s[2:3], s[24:25]
	s_wait_alu 0xfffe
	v_add_co_u32 v4, s2, v4, s24
	s_delay_alu instid0(VALU_DEP_1) | instskip(SKIP_1) | instid1(VALU_DEP_1)
	s_cmp_lg_u32 s2, 0
	s_add_co_ci_u32 s2, s23, s25
	v_mul_hi_u32 v13, v5, v4
	s_wait_alu 0xfffe
	v_mad_co_u64_u32 v[7:8], null, v5, s2, 0
	v_mad_co_u64_u32 v[9:10], null, v6, v4, 0
	;; [unrolled: 1-line block ×3, first 2 shown]
	s_delay_alu instid0(VALU_DEP_3) | instskip(SKIP_1) | instid1(VALU_DEP_4)
	v_add_co_u32 v4, vcc_lo, v13, v7
	s_wait_alu 0xfffd
	v_add_co_ci_u32_e32 v7, vcc_lo, 0, v8, vcc_lo
	s_delay_alu instid0(VALU_DEP_2) | instskip(SKIP_1) | instid1(VALU_DEP_2)
	v_add_co_u32 v4, vcc_lo, v4, v9
	s_wait_alu 0xfffd
	v_add_co_ci_u32_e32 v4, vcc_lo, v7, v10, vcc_lo
	s_wait_alu 0xfffd
	v_add_co_ci_u32_e32 v7, vcc_lo, 0, v12, vcc_lo
	s_delay_alu instid0(VALU_DEP_2) | instskip(SKIP_1) | instid1(VALU_DEP_2)
	v_add_co_u32 v4, vcc_lo, v4, v11
	s_wait_alu 0xfffd
	v_add_co_ci_u32_e32 v9, vcc_lo, 0, v7, vcc_lo
	s_delay_alu instid0(VALU_DEP_2) | instskip(SKIP_1) | instid1(VALU_DEP_3)
	v_mul_lo_u32 v10, s19, v4
	v_mad_co_u64_u32 v[7:8], null, s18, v4, 0
	v_mul_lo_u32 v11, s18, v9
	s_delay_alu instid0(VALU_DEP_2) | instskip(NEXT) | instid1(VALU_DEP_2)
	v_sub_co_u32 v7, vcc_lo, v5, v7
	v_add3_u32 v8, v8, v11, v10
	s_delay_alu instid0(VALU_DEP_1) | instskip(SKIP_1) | instid1(VALU_DEP_1)
	v_sub_nc_u32_e32 v10, v6, v8
	s_wait_alu 0xfffd
	v_subrev_co_ci_u32_e64 v10, s2, s19, v10, vcc_lo
	v_add_co_u32 v11, s2, v4, 2
	s_wait_alu 0xf1ff
	v_add_co_ci_u32_e64 v12, s2, 0, v9, s2
	v_sub_co_u32 v13, s2, v7, s18
	v_sub_co_ci_u32_e32 v8, vcc_lo, v6, v8, vcc_lo
	s_wait_alu 0xf1ff
	v_subrev_co_ci_u32_e64 v10, s2, 0, v10, s2
	s_delay_alu instid0(VALU_DEP_3) | instskip(NEXT) | instid1(VALU_DEP_3)
	v_cmp_le_u32_e32 vcc_lo, s18, v13
	v_cmp_eq_u32_e64 s2, s19, v8
	s_wait_alu 0xfffd
	v_cndmask_b32_e64 v13, 0, -1, vcc_lo
	v_cmp_le_u32_e32 vcc_lo, s19, v10
	s_wait_alu 0xfffd
	v_cndmask_b32_e64 v14, 0, -1, vcc_lo
	v_cmp_le_u32_e32 vcc_lo, s18, v7
	;; [unrolled: 3-line block ×3, first 2 shown]
	s_wait_alu 0xfffd
	v_cndmask_b32_e64 v15, 0, -1, vcc_lo
	v_cmp_eq_u32_e32 vcc_lo, s19, v10
	s_wait_alu 0xf1ff
	s_delay_alu instid0(VALU_DEP_2)
	v_cndmask_b32_e64 v7, v15, v7, s2
	s_wait_alu 0xfffd
	v_cndmask_b32_e32 v10, v14, v13, vcc_lo
	v_add_co_u32 v13, vcc_lo, v4, 1
	s_wait_alu 0xfffd
	v_add_co_ci_u32_e32 v14, vcc_lo, 0, v9, vcc_lo
	s_delay_alu instid0(VALU_DEP_3) | instskip(SKIP_2) | instid1(VALU_DEP_3)
	v_cmp_ne_u32_e32 vcc_lo, 0, v10
	s_wait_alu 0xfffd
	v_cndmask_b32_e32 v10, v13, v11, vcc_lo
	v_cndmask_b32_e32 v8, v14, v12, vcc_lo
	v_cmp_ne_u32_e32 vcc_lo, 0, v7
	s_wait_alu 0xfffd
	s_delay_alu instid0(VALU_DEP_2)
	v_dual_cndmask_b32 v7, v4, v10 :: v_dual_cndmask_b32 v8, v9, v8
.LBB0_4:                                ;   in Loop: Header=BB0_2 Depth=1
	s_wait_alu 0xfffe
	s_and_not1_saveexec_b32 s2, s20
	s_cbranch_execz .LBB0_6
; %bb.5:                                ;   in Loop: Header=BB0_2 Depth=1
	v_cvt_f32_u32_e32 v4, s18
	s_sub_co_i32 s20, 0, s18
	s_delay_alu instid0(VALU_DEP_1) | instskip(NEXT) | instid1(TRANS32_DEP_1)
	v_rcp_iflag_f32_e32 v4, v4
	v_mul_f32_e32 v4, 0x4f7ffffe, v4
	s_delay_alu instid0(VALU_DEP_1) | instskip(SKIP_1) | instid1(VALU_DEP_1)
	v_cvt_u32_f32_e32 v4, v4
	s_wait_alu 0xfffe
	v_mul_lo_u32 v7, s20, v4
	s_delay_alu instid0(VALU_DEP_1) | instskip(NEXT) | instid1(VALU_DEP_1)
	v_mul_hi_u32 v7, v4, v7
	v_add_nc_u32_e32 v4, v4, v7
	s_delay_alu instid0(VALU_DEP_1) | instskip(NEXT) | instid1(VALU_DEP_1)
	v_mul_hi_u32 v4, v5, v4
	v_mul_lo_u32 v7, v4, s18
	v_add_nc_u32_e32 v8, 1, v4
	s_delay_alu instid0(VALU_DEP_2) | instskip(NEXT) | instid1(VALU_DEP_1)
	v_sub_nc_u32_e32 v7, v5, v7
	v_subrev_nc_u32_e32 v9, s18, v7
	v_cmp_le_u32_e32 vcc_lo, s18, v7
	s_wait_alu 0xfffd
	s_delay_alu instid0(VALU_DEP_2) | instskip(NEXT) | instid1(VALU_DEP_1)
	v_dual_cndmask_b32 v7, v7, v9 :: v_dual_cndmask_b32 v4, v4, v8
	v_cmp_le_u32_e32 vcc_lo, s18, v7
	s_delay_alu instid0(VALU_DEP_2) | instskip(SKIP_1) | instid1(VALU_DEP_1)
	v_add_nc_u32_e32 v8, 1, v4
	s_wait_alu 0xfffd
	v_dual_cndmask_b32 v7, v4, v8 :: v_dual_mov_b32 v8, v3
.LBB0_6:                                ;   in Loop: Header=BB0_2 Depth=1
	s_wait_alu 0xfffe
	s_or_b32 exec_lo, exec_lo, s2
	s_load_b64 s[20:21], s[12:13], 0x0
	s_delay_alu instid0(VALU_DEP_1)
	v_mul_lo_u32 v4, v8, s18
	v_mul_lo_u32 v11, v7, s19
	v_mad_co_u64_u32 v[9:10], null, v7, s18, 0
	s_add_nc_u64 s[14:15], s[14:15], 1
	s_add_nc_u64 s[12:13], s[12:13], 8
	s_wait_alu 0xfffe
	v_cmp_ge_u64_e64 s2, s[14:15], s[6:7]
	s_add_nc_u64 s[16:17], s[16:17], 8
	s_delay_alu instid0(VALU_DEP_2) | instskip(NEXT) | instid1(VALU_DEP_3)
	v_add3_u32 v4, v10, v11, v4
	v_sub_co_u32 v5, vcc_lo, v5, v9
	s_wait_alu 0xfffd
	s_delay_alu instid0(VALU_DEP_2) | instskip(SKIP_3) | instid1(VALU_DEP_2)
	v_sub_co_ci_u32_e32 v4, vcc_lo, v6, v4, vcc_lo
	s_and_b32 vcc_lo, exec_lo, s2
	s_wait_kmcnt 0x0
	v_mul_lo_u32 v6, s21, v5
	v_mul_lo_u32 v4, s20, v4
	v_mad_co_u64_u32 v[1:2], null, s20, v5, v[1:2]
	s_delay_alu instid0(VALU_DEP_1)
	v_add3_u32 v2, v6, v2, v4
	s_wait_alu 0xfffe
	s_cbranch_vccnz .LBB0_9
; %bb.7:                                ;   in Loop: Header=BB0_2 Depth=1
	v_dual_mov_b32 v5, v7 :: v_dual_mov_b32 v6, v8
	s_branch .LBB0_2
.LBB0_8:
	v_dual_mov_b32 v8, v6 :: v_dual_mov_b32 v7, v5
.LBB0_9:
	s_lshl_b64 s[2:3], s[6:7], 3
	v_mul_hi_u32 v3, 0x226b903, v0
	s_wait_alu 0xfffe
	s_add_nc_u64 s[2:3], s[10:11], s[2:3]
                                        ; implicit-def: $vgpr57
                                        ; implicit-def: $vgpr46
                                        ; implicit-def: $vgpr55
                                        ; implicit-def: $vgpr44
                                        ; implicit-def: $vgpr53
                                        ; implicit-def: $vgpr43
                                        ; implicit-def: $vgpr51
                                        ; implicit-def: $vgpr41
                                        ; implicit-def: $vgpr48
                                        ; implicit-def: $vgpr38
                                        ; implicit-def: $vgpr47
                                        ; implicit-def: $vgpr37
                                        ; implicit-def: $vgpr45
                                        ; implicit-def: $vgpr35
                                        ; implicit-def: $vgpr32
                                        ; implicit-def: $vgpr39
                                        ; implicit-def: $vgpr52
                                        ; implicit-def: $vgpr36
                                        ; implicit-def: $vgpr58
                                        ; implicit-def: $vgpr34
                                        ; implicit-def: $vgpr59
                                        ; implicit-def: $vgpr33
                                        ; implicit-def: $vgpr60
                                        ; implicit-def: $vgpr40
                                        ; implicit-def: $vgpr56
                                        ; implicit-def: $vgpr42
                                        ; implicit-def: $vgpr54
                                        ; implicit-def: $vgpr49
                                        ; implicit-def: $vgpr50
	s_load_b64 s[2:3], s[2:3], 0x0
	s_load_b64 s[0:1], s[0:1], 0x20
	s_delay_alu instid0(VALU_DEP_1)
	v_mul_u32_u24_e32 v3, 0x77, v3
	s_wait_kmcnt 0x0
	v_mul_lo_u32 v4, s2, v8
	v_mul_lo_u32 v5, s3, v7
	v_mad_co_u64_u32 v[1:2], null, s2, v7, v[1:2]
	v_cmp_gt_u64_e32 vcc_lo, s[0:1], v[7:8]
	v_mov_b32_e32 v6, 0
	v_sub_nc_u32_e32 v8, v0, v3
	v_dual_mov_b32 v7, 0 :: v_dual_mov_b32 v0, 0
                                        ; implicit-def: $vgpr3
	v_add3_u32 v2, v5, v2, v4
	s_delay_alu instid0(VALU_DEP_1)
	v_lshlrev_b64_e32 v[4:5], 2, v[1:2]
                                        ; implicit-def: $vgpr1
                                        ; implicit-def: $vgpr2
	s_and_saveexec_b32 s1, vcc_lo
	s_cbranch_execz .LBB0_11
; %bb.10:
	v_mov_b32_e32 v9, 0
	s_delay_alu instid0(VALU_DEP_2) | instskip(SKIP_2) | instid1(VALU_DEP_3)
	v_add_co_u32 v2, s0, s8, v4
	s_wait_alu 0xf1ff
	v_add_co_ci_u32_e64 v3, s0, s9, v5, s0
	v_lshlrev_b64_e32 v[0:1], 2, v[8:9]
	s_delay_alu instid0(VALU_DEP_1) | instskip(SKIP_1) | instid1(VALU_DEP_2)
	v_add_co_u32 v6, s0, v2, v0
	s_wait_alu 0xf1ff
	v_add_co_ci_u32_e64 v7, s0, v3, v1, s0
	s_clause 0x10
	global_load_b32 v46, v[6:7], off offset:476
	global_load_b32 v44, v[6:7], off offset:952
	;; [unrolled: 1-line block ×16, first 2 shown]
	global_load_b32 v0, v[6:7], off
	v_dual_mov_b32 v6, v8 :: v_dual_mov_b32 v7, v9
	s_wait_loadcnt 0x10
	v_lshrrev_b32_e32 v57, 16, v46
	s_wait_loadcnt 0xf
	v_lshrrev_b32_e32 v55, 16, v44
	;; [unrolled: 2-line block ×16, first 2 shown]
.LBB0_11:
	s_wait_alu 0xfffe
	s_or_b32 exec_lo, exec_lo, s1
	v_add_f16_e32 v10, v46, v60
	s_delay_alu instid0(VALU_DEP_2)
	v_sub_f16_e32 v11, v57, v33
	v_add_f16_e32 v12, v44, v59
	v_sub_f16_e32 v13, v55, v34
	v_add_f16_e32 v16, v43, v58
	v_pk_mul_f16 v28, 0x39e93b76, v10 op_sel_hi:[1,0]
	v_pk_mul_f16 v65, 0x2de83722, v10 op_sel_hi:[1,0]
	v_pk_mul_f16 v29, 0x2de839e9, v12 op_sel_hi:[1,0]
	v_sub_f16_e32 v17, v53, v36
	v_add_f16_e32 v18, v41, v56
	v_pk_fma_f16 v14, 0xb964b5c8, v11, v28 op_sel_hi:[1,0,1] neg_lo:[0,1,0] neg_hi:[0,1,0]
	v_pk_mul_f16 v30, 0xb8d23722, v16 op_sel_hi:[1,0]
	v_pk_mul_f16 v66, 0xbbddb8d2, v12 op_sel_hi:[1,0]
	v_pk_fma_f16 v15, 0xbbf7b964, v13, v29 op_sel_hi:[1,0,1] neg_lo:[0,1,0] neg_hi:[0,1,0]
	v_pk_fma_f16 v76, 0xbbf7bb29, v11, v65 op_sel_hi:[1,0,1] neg_lo:[0,1,0] neg_hi:[0,1,0]
	s_wait_loadcnt 0x0
	v_pk_add_f16 v14, v14, v0 op_sel_hi:[1,0]
	v_sub_f16_e32 v19, v51, v40
	v_add_f16_e32 v20, v38, v54
	v_pk_mul_f16 v61, 0xbbdd2de8, v18 op_sel_hi:[1,0]
	v_pk_mul_f16 v67, 0xb461bbdd, v16 op_sel_hi:[1,0]
	v_pk_fma_f16 v74, 0xba62bb29, v17, v30 op_sel_hi:[1,0,1] neg_lo:[0,1,0] neg_hi:[0,1,0]
	v_pk_add_f16 v14, v15, v14
	v_pk_fma_f16 v77, 0xb1e1ba62, v13, v66 op_sel_hi:[1,0,1] neg_lo:[0,1,0] neg_hi:[0,1,0]
	v_pk_add_f16 v76, v76, v0 op_sel_hi:[1,0]
	v_sub_f16_e32 v21, v48, v42
	v_add_f16_e32 v22, v37, v52
	v_pk_mul_f16 v62, 0xbacdb461, v20 op_sel_hi:[1,0]
	v_pk_mul_f16 v68, 0x3b76b461, v18 op_sel_hi:[1,0]
	v_pk_fma_f16 v75, 0xb1e1bbf7, v19, v61 op_sel_hi:[1,0,1] neg_lo:[0,1,0] neg_hi:[0,1,0]
	v_pk_add_f16 v14, v74, v14
	v_pk_fma_f16 v78, 0x3bb231e1, v17, v67 op_sel_hi:[1,0,1] neg_lo:[0,1,0] neg_hi:[0,1,0]
	v_pk_add_f16 v76, v77, v76
	v_sub_f16_e32 v23, v47, v39
	v_add_f16_e32 v24, v35, v50
	v_pk_mul_f16 v63, 0xb461b8d2, v22 op_sel_hi:[1,0]
	v_pk_mul_f16 v69, 0x372239e9, v20 op_sel_hi:[1,0]
	v_pk_fma_f16 v15, 0x3836bbb2, v21, v62 op_sel_hi:[1,0,1] neg_lo:[0,1,0] neg_hi:[0,1,0]
	v_pk_add_f16 v14, v75, v14
	v_pk_fma_f16 v77, 0x35c83bb2, v19, v68 op_sel_hi:[1,0,1] neg_lo:[0,1,0] neg_hi:[0,1,0]
	v_pk_add_f16 v76, v78, v76
	v_sub_f16_e32 v25, v45, v49
	v_pk_mul_f16 v64, 0x3722bacd, v24 op_sel_hi:[1,0]
	v_pk_mul_f16 v70, 0xbacd3b76, v22 op_sel_hi:[1,0]
	;; [unrolled: 1-line block ×3, first 2 shown]
	v_pk_fma_f16 v74, 0x3bb2ba62, v23, v63 op_sel_hi:[1,0,1] neg_lo:[0,1,0] neg_hi:[0,1,0]
	v_pk_add_f16 v14, v15, v14
	v_pk_fma_f16 v15, 0xbb293964, v21, v69 op_sel_hi:[1,0,1] neg_lo:[0,1,0] neg_hi:[0,1,0]
	v_pk_add_f16 v76, v77, v76
	v_add_f16_e32 v26, v1, v2
	v_pk_mul_f16 v71, 0xb8d22de8, v24 op_sel_hi:[1,0]
	v_pk_mul_f16 v73, 0xb461bacd, v12 op_sel_hi:[1,0]
	v_pk_fma_f16 v75, 0x3b29b836, v25, v64 op_sel_hi:[1,0,1] neg_lo:[0,1,0] neg_hi:[0,1,0]
	v_pk_fma_f16 v78, 0xba62bbb2, v11, v72 op_sel_hi:[1,0,1] neg_lo:[0,1,0] neg_hi:[0,1,0]
	v_pk_add_f16 v14, v74, v14
	v_pk_fma_f16 v74, 0xb836b5c8, v23, v70 op_sel_hi:[1,0,1] neg_lo:[0,1,0] neg_hi:[0,1,0]
	v_pk_add_f16 v15, v15, v76
	v_sub_f16_e32 v27, v3, v32
	v_pk_add_f16 v77, v78, v0 op_sel_hi:[1,0]
	v_pk_add_f16 v14, v75, v14
	v_pk_fma_f16 v75, 0x3bb23836, v13, v73 op_sel_hi:[1,0,1] neg_lo:[0,1,0] neg_hi:[0,1,0]
	v_pk_mul_f16 v76, 0x3b7639e9, v16 op_sel_hi:[1,0]
	v_pk_add_f16 v15, v74, v15
	v_pk_fma_f16 v74, 0x3a62bbf7, v25, v71 op_sel_hi:[1,0,1] neg_lo:[0,1,0] neg_hi:[0,1,0]
	v_pk_mul_f16 v81, 0x39e9bacd, v26 op_sel_hi:[1,0]
	v_pk_mul_f16 v78, 0x3b76bbdd, v26 op_sel_hi:[1,0]
	v_pk_add_f16 v75, v75, v77
	v_pk_fma_f16 v77, 0xb5c83964, v17, v76 op_sel_hi:[1,0,1] neg_lo:[0,1,0] neg_hi:[0,1,0]
	v_pk_mul_f16 v79, 0xbacd3722, v18 op_sel_hi:[1,0]
	v_pk_add_f16 v15, v74, v15
	v_pk_fma_f16 v82, 0x3964b836, v27, v81 op_sel_hi:[1,0,1] neg_lo:[0,1,0] neg_hi:[0,1,0]
	v_pk_mul_f16 v10, 0xbbddbacd, v10 op_sel_hi:[1,0]
	v_pk_fma_f16 v80, 0x35c8b1e1, v27, v78 op_sel_hi:[1,0,1] neg_lo:[0,1,0] neg_hi:[0,1,0]
	v_pk_add_f16 v74, v77, v75
	v_pk_fma_f16 v75, 0xb836bb29, v19, v79 op_sel_hi:[1,0,1] neg_lo:[0,1,0] neg_hi:[0,1,0]
	v_pk_mul_f16 v77, 0x2de8bbdd, v20 op_sel_hi:[1,0]
	v_pk_add_f16 v15, v82, v15
	v_pk_fma_f16 v82, 0xb1e1b836, v11, v10 op_sel_hi:[1,0,1] neg_lo:[0,1,0] neg_hi:[0,1,0]
	v_pk_mul_f16 v12, 0x3b763722, v12 op_sel_hi:[1,0]
	v_pk_fma_f16 v10, 0xb1e1b836, v11, v10 op_sel_hi:[1,0,1]
	v_add_f16_e32 v9, v46, v0
	v_pk_add_f16 v14, v80, v14
	v_pk_add_f16 v74, v75, v74
	v_pk_fma_f16 v75, 0x3bf7b1e1, v21, v77 op_sel_hi:[1,0,1] neg_lo:[0,1,0] neg_hi:[0,1,0]
	v_pk_mul_f16 v80, 0x39e92de8, v22 op_sel_hi:[1,0]
	v_pk_fma_f16 v83, 0x35c83b29, v13, v12 op_sel_hi:[1,0,1] neg_lo:[0,1,0] neg_hi:[0,1,0]
	v_pk_mul_f16 v16, 0xbacd2de8, v16 op_sel_hi:[1,0]
	v_pk_add_f16 v10, v10, v0 op_sel_hi:[1,0]
	v_pk_fma_f16 v12, 0x35c83b29, v13, v12 op_sel_hi:[1,0,1]
	v_add_f16_e32 v9, v44, v9
	v_pk_add_f16 v74, v75, v74
	v_pk_fma_f16 v75, 0xb9643bf7, v23, v80 op_sel_hi:[1,0,1] neg_lo:[0,1,0] neg_hi:[0,1,0]
	v_pk_add_f16 v82, v82, v0 op_sel_hi:[1,0]
	v_pk_mul_f16 v18, 0x39e9b8d2, v18 op_sel_hi:[1,0]
	v_pk_add_f16 v10, v12, v10
	v_pk_fma_f16 v12, 0xb836bbf7, v17, v16 op_sel_hi:[1,0,1]
	v_add_f16_e32 v9, v43, v9
	v_pk_add_f16 v74, v75, v74
	v_pk_add_f16 v75, v83, v82
	v_pk_fma_f16 v82, 0xb836bbf7, v17, v16 op_sel_hi:[1,0,1] neg_lo:[0,1,0] neg_hi:[0,1,0]
	v_pk_mul_f16 v20, 0xb8d23b76, v20 op_sel_hi:[1,0]
	v_pk_add_f16 v10, v12, v10
	v_pk_fma_f16 v12, 0x39643a62, v19, v18 op_sel_hi:[1,0,1]
	v_add_f16_e32 v9, v41, v9
	v_pk_add_f16 v16, v82, v75
	v_pk_fma_f16 v75, 0x39643a62, v19, v18 op_sel_hi:[1,0,1] neg_lo:[0,1,0] neg_hi:[0,1,0]
	v_pk_mul_f16 v22, 0x3722bbdd, v22 op_sel_hi:[1,0]
	v_pk_add_f16 v10, v12, v10
	v_pk_fma_f16 v12, 0xba62b5c8, v21, v20 op_sel_hi:[1,0,1]
	v_add_f16_e32 v9, v38, v9
	v_pk_mul_f16 v83, 0xbbdd3b76, v24 op_sel_hi:[1,0]
	v_pk_add_f16 v16, v75, v16
	v_pk_fma_f16 v75, 0xba62b5c8, v21, v20 op_sel_hi:[1,0,1] neg_lo:[0,1,0] neg_hi:[0,1,0]
	v_pk_mul_f16 v24, 0xb46139e9, v24 op_sel_hi:[1,0]
	v_pk_add_f16 v10, v12, v10
	v_pk_fma_f16 v12, 0x3b29b1e1, v23, v22 op_sel_hi:[1,0,1]
	v_add_f16_e32 v9, v37, v9
	v_pk_fma_f16 v18, 0xb1e1b5c8, v25, v83 op_sel_hi:[1,0,1] neg_lo:[0,1,0] neg_hi:[0,1,0]
	v_pk_add_f16 v16, v75, v16
	v_pk_fma_f16 v75, 0x3b29b1e1, v23, v22 op_sel_hi:[1,0,1] neg_lo:[0,1,0] neg_hi:[0,1,0]
	v_pk_add_f16 v10, v12, v10
	v_pk_fma_f16 v12, 0xbbb23964, v25, v24 op_sel_hi:[1,0,1]
	v_add_f16_e32 v9, v35, v9
	v_pk_add_f16 v18, v18, v74
	v_pk_add_f16 v74, v75, v16
	v_pk_fma_f16 v75, 0xbbb23964, v25, v24 op_sel_hi:[1,0,1] neg_lo:[0,1,0] neg_hi:[0,1,0]
	v_pk_fma_f16 v24, 0xba62bbb2, v11, v72 op_sel_hi:[1,0,1]
	v_pk_add_f16 v10, v12, v10
	v_pk_fma_f16 v12, 0xbbf7bb29, v11, v65 op_sel_hi:[1,0,1]
	v_pk_fma_f16 v11, 0xb964b5c8, v11, v28 op_sel_hi:[1,0,1]
	v_add_f16_e32 v9, v1, v9
	v_pk_add_f16 v24, v24, v0 op_sel_hi:[1,0]
	v_pk_fma_f16 v28, 0x3bb23836, v13, v73 op_sel_hi:[1,0,1]
	v_pk_add_f16 v12, v12, v0 op_sel_hi:[1,0]
	v_pk_fma_f16 v65, 0xb1e1ba62, v13, v66 op_sel_hi:[1,0,1]
	v_pk_add_f16 v11, v11, v0 op_sel_hi:[1,0]
	v_pk_fma_f16 v13, 0xbbf7b964, v13, v29 op_sel_hi:[1,0,1]
	v_add_f16_e32 v9, v2, v9
	v_pk_add_f16 v24, v28, v24
	v_pk_fma_f16 v28, 0xb5c83964, v17, v76 op_sel_hi:[1,0,1]
	v_pk_add_f16 v12, v65, v12
	v_pk_fma_f16 v29, 0x3bb231e1, v17, v67 op_sel_hi:[1,0,1]
	;; [unrolled: 2-line block ×3, first 2 shown]
	v_add_f16_e32 v9, v50, v9
	v_pk_add_f16 v17, v28, v24
	v_pk_fma_f16 v24, 0xb836bb29, v19, v79 op_sel_hi:[1,0,1]
	v_pk_add_f16 v12, v29, v12
	v_pk_fma_f16 v28, 0x35c83bb2, v19, v68 op_sel_hi:[1,0,1]
	;; [unrolled: 2-line block ×3, first 2 shown]
	v_add_f16_e32 v9, v52, v9
	v_pk_mul_f16 v20, 0x3722b8d2, v26 op_sel_hi:[1,0]
	v_pk_add_f16 v17, v24, v17
	v_pk_fma_f16 v19, 0x3bf7b1e1, v21, v77 op_sel_hi:[1,0,1]
	v_pk_add_f16 v12, v28, v12
	v_pk_fma_f16 v24, 0xbb293964, v21, v69 op_sel_hi:[1,0,1]
	;; [unrolled: 2-line block ×3, first 2 shown]
	v_add_f16_e32 v9, v54, v9
	v_pk_fma_f16 v22, 0x3b29ba62, v27, v20 op_sel_hi:[1,0,1] neg_lo:[0,1,0] neg_hi:[0,1,0]
	v_pk_add_f16 v17, v19, v17
	v_pk_fma_f16 v19, 0xb9643bf7, v23, v80 op_sel_hi:[1,0,1]
	v_pk_add_f16 v12, v24, v12
	v_pk_fma_f16 v21, 0xb836b5c8, v23, v70 op_sel_hi:[1,0,1]
	;; [unrolled: 2-line block ×3, first 2 shown]
	v_add_f16_e32 v9, v56, v9
	v_pk_add_f16 v16, v22, v18
	v_pk_mul_f16 v18, 0x2de8b461, v26 op_sel_hi:[1,0]
	v_pk_add_f16 v17, v19, v17
	v_pk_fma_f16 v19, 0xb1e1b5c8, v25, v83 op_sel_hi:[1,0,1]
	v_pk_add_f16 v12, v21, v12
	v_pk_fma_f16 v21, 0x3a62bbf7, v25, v71 op_sel_hi:[1,0,1]
	;; [unrolled: 2-line block ×3, first 2 shown]
	v_add_f16_e32 v9, v58, v9
	v_pk_fma_f16 v26, 0x3bf7bbb2, v27, v18 op_sel_hi:[1,0,1]
	v_pk_add_f16 v17, v19, v17
	v_pk_fma_f16 v19, 0x3b29ba62, v27, v20 op_sel_hi:[1,0,1]
	v_pk_add_f16 v12, v21, v12
	;; [unrolled: 2-line block ×3, first 2 shown]
	v_pk_fma_f16 v13, 0x35c8b1e1, v27, v78 op_sel_hi:[1,0,1]
	v_add_f16_e32 v9, v59, v9
	v_pk_add_f16 v22, v75, v74
	v_pk_fma_f16 v18, 0x3bf7bbb2, v27, v18 op_sel_hi:[1,0,1] neg_lo:[0,1,0] neg_hi:[0,1,0]
	v_pk_add_f16 v21, v26, v10
	v_pk_add_f16 v19, v19, v17
	;; [unrolled: 1-line block ×4, first 2 shown]
	v_mad_u32_u24 v31, v8, 34, 0
	v_add_f16_e32 v9, v60, v9
	v_lshlrev_b32_e32 v11, 5, v8
	v_pk_add_f16 v17, v18, v22
	v_alignbit_b32 v18, v21, v21, 16
	v_alignbit_b32 v19, v19, v19, 16
	;; [unrolled: 1-line block ×4, first 2 shown]
	ds_store_b16 v31, v9
	ds_store_b128 v31, v[14:17] offset:2
	ds_store_b128 v31, v[18:21] offset:18
	v_sub_nc_u32_e32 v9, v31, v11
	global_wb scope:SCOPE_SE
	s_wait_dscnt 0x0
	s_barrier_signal -1
	s_barrier_wait -1
	global_inv scope:SCOPE_SE
	ds_load_u16 v12, v9
	ds_load_u16 v25, v9 offset:2312
	ds_load_u16 v14, v9 offset:1972
	;; [unrolled: 1-line block ×13, first 2 shown]
	v_cmp_gt_u32_e64 s0, 51, v8
	v_lshrrev_b32_e32 v19, 16, v13
                                        ; implicit-def: $vgpr21
                                        ; implicit-def: $vgpr20
                                        ; implicit-def: $vgpr23
                                        ; implicit-def: $vgpr24
	s_delay_alu instid0(VALU_DEP_2)
	s_and_saveexec_b32 s1, s0
	s_cbranch_execz .LBB0_13
; %bb.12:
	ds_load_u16 v10, v9 offset:476
	ds_load_u16 v19, v9 offset:1054
	;; [unrolled: 1-line block ×7, first 2 shown]
.LBB0_13:
	s_wait_alu 0xfffe
	s_or_b32 exec_lo, exec_lo, s1
	v_lshrrev_b32_e32 v61, 16, v0
	v_add_f16_e32 v62, v57, v33
	v_sub_f16_e32 v46, v46, v60
	v_add_f16_e32 v60, v55, v34
	v_sub_f16_e32 v37, v37, v52
	;; [unrolled: 2-line block ×4, first 2 shown]
	v_add_f16_e32 v56, v48, v42
	v_add_f16_e32 v55, v55, v57
	v_sub_f16_e32 v38, v38, v54
	v_add_f16_e32 v54, v47, v39
	v_sub_f16_e32 v44, v44, v59
	v_add_f16_e32 v59, v53, v36
	v_add_f16_e32 v52, v53, v55
	;; [unrolled: 1-line block ×3, first 2 shown]
	v_mul_f16_e32 v55, 0xb5c8, v46
	v_mul_f16_e32 v57, 0xb1e1, v46
	;; [unrolled: 1-line block ×3, first 2 shown]
	v_add_f16_e32 v51, v51, v52
	v_mul_f16_e32 v65, 0x35c8, v44
	v_fma_f16 v81, v62, 0x3b76, -v55
	v_mul_f16_e32 v67, 0xbb29, v43
	v_fmamk_f16 v82, v62, 0xbbdd, v57
	v_add_f16_e32 v48, v48, v51
	v_fma_f16 v83, v60, 0x39e9, -v64
	v_add_f16_e32 v81, v81, v61
	v_mul_f16_e32 v68, 0xb836, v43
	v_mul_f16_e32 v70, 0xbbf7, v41
	v_add_f16_e32 v47, v47, v48
	v_fma_f16 v84, v59, 0x3722, -v67
	v_add_f16_e32 v82, v82, v61
	v_add_f16_e32 v81, v83, v81
	v_mul_f16_e32 v71, 0x3964, v41
	v_add_f16_e32 v45, v45, v47
	v_mul_f16_e32 v73, 0xbbb2, v38
	v_fma_f16 v83, v58, 0x2de8, -v70
	v_add_f16_e32 v81, v84, v81
	v_sub_f16_e32 v35, v35, v50
	v_add_f16_e32 v45, v3, v45
	v_mul_f16_e32 v75, 0xba62, v38
	v_mul_f16_e32 v77, 0xba62, v37
	;; [unrolled: 1-line block ×4, first 2 shown]
	v_add_f16_e32 v45, v32, v45
	v_pk_mul_f16 v84, 0xbbf7ba62, v44 op_sel_hi:[1,0]
	v_pk_mul_f16 v87, 0xb8d2bbdd, v59 op_sel_hi:[1,0]
	;; [unrolled: 1-line block ×3, first 2 shown]
	v_add_f16_e32 v89, v3, v32
	v_add_f16_e32 v45, v49, v45
	v_mul_f16_e32 v49, 0xbbb2, v35
	v_pk_fma_f16 v86, 0x2de8b8d2, v60, v84 op_sel_hi:[1,0,1] neg_lo:[0,0,1] neg_hi:[0,0,1]
	v_sub_f16_e32 v1, v1, v2
	v_add_f16_e32 v32, v87, v88
	v_add_f16_e32 v39, v39, v45
	v_fmamk_f16 v45, v60, 0x3b76, v65
	v_mul_f16_e32 v50, 0x3b76, v62
	v_mul_f16_e32 v63, 0x39e9, v60
	v_pk_mul_f16 v91, 0xbacd39e9, v56 op_sel_hi:[1,0]
	v_add_f16_e32 v39, v42, v39
	v_fmamk_f16 v42, v59, 0xbacd, v68
	v_add_f16_e32 v45, v45, v82
	v_fma_f16 v82, v56, 0xb461, -v73
	v_pk_mul_f16 v92, 0x38363964, v38 op_sel_hi:[1,0]
	v_add_f16_e32 v39, v40, v39
	v_fmamk_f16 v40, v58, 0x39e9, v71
	v_add_f16_e32 v42, v42, v45
	v_add_f16_e32 v45, v83, v81
	v_fma_f16 v81, v54, 0xb8d2, -v77
	v_add_f16_e32 v36, v36, v39
	v_fmamk_f16 v39, v56, 0xb8d2, v75
	v_add_f16_e32 v40, v40, v42
	v_add_f16_e32 v42, v82, v45
	v_fma_f16 v45, v53, 0xbacd, -v80
	v_add_f16_e32 v34, v34, v36
	v_fmamk_f16 v36, v54, 0x3722, v79
	v_add_f16_e32 v39, v39, v40
	v_add_f16_e32 v40, v81, v42
	v_pk_mul_f16 v42, 0xb964bb29, v46 op_sel_hi:[1,0]
	v_add_f16_e32 v33, v33, v34
	v_pk_mul_f16 v34, 0x39e93722, v62 op_sel_hi:[1,0]
	v_add_f16_e32 v36, v36, v39
	v_add_f16_e32 v40, v45, v40
	v_fmamk_f16 v45, v53, 0xb461, v49
	v_pk_fma_f16 v82, 0x39e93722, v62, v42 op_sel_hi:[1,0,1] neg_lo:[0,0,1] neg_hi:[0,0,1]
	v_add_f16_e32 v81, v34, v42
	v_pk_mul_f16 v83, 0x2de8b8d2, v60 op_sel_hi:[1,0]
	v_mul_f16_e32 v66, 0x3722, v59
	v_add_f16_e32 v45, v45, v36
	v_mul_f16_e32 v69, 0x2de8, v58
	v_add_f16_e32 v36, v81, v61
	v_pk_add_f16 v81, v82, v0 op_sel:[0,1]
	v_add_f16_e32 v82, v83, v84
	v_mul_f16_e32 v72, 0xb461, v56
	v_mul_f16_e32 v76, 0xb8d2, v54
	;; [unrolled: 1-line block ×3, first 2 shown]
	v_pk_add_f16 v3, v86, v81
	v_add_f16_e32 v2, v82, v36
	v_pk_mul_f16 v36, 0xbbddb461, v58 op_sel_hi:[1,0]
	v_pk_mul_f16 v81, 0xb1e13bb2, v41 op_sel_hi:[1,0]
	v_pk_fma_f16 v82, 0xb8d2bbdd, v59, v88 op_sel_hi:[1,0,1] neg_lo:[0,0,1] neg_hi:[0,0,1]
	v_mul_f16_e32 v39, 0xbacd, v53
	v_add_f16_e32 v2, v32, v2
	v_mul_f16_e32 v86, 0xbbdd, v89
	v_add_f16_e32 v32, v36, v81
	v_pk_add_f16 v3, v82, v3
	v_pk_fma_f16 v82, 0xbbddb461, v58, v81 op_sel_hi:[1,0,1] neg_lo:[0,0,1] neg_hi:[0,0,1]
	v_bfi_b32 v36, 0xffff, v69, v36
	v_mul_f16_e32 v52, 0xbbdd, v62
	v_add_f16_e32 v2, v32, v2
	v_bfi_b32 v32, 0xffff, v50, v34
	v_bfi_b32 v34, 0xffff, v55, v42
	v_add_f16_e32 v42, v91, v92
	v_pk_add_f16 v3, v82, v3
	v_pk_mul_f16 v50, 0xb4613b76, v54 op_sel_hi:[1,0]
	v_pk_mul_f16 v55, 0x3bb2b5c8, v37 op_sel_hi:[1,0]
	v_pk_add_f16 v32, v32, v34
	v_bfi_b32 v34, 0xffff, v63, v83
	v_bfi_b32 v63, 0xffff, v64, v84
	v_add_f16_e32 v2, v42, v2
	v_pk_fma_f16 v42, 0xbacd39e9, v56, v92 op_sel_hi:[1,0,1] neg_lo:[0,0,1] neg_hi:[0,0,1]
	v_pk_add_f16 v32, v32, v0 op_sel:[0,1]
	v_add_f16_e32 v64, v50, v55
	v_pk_add_f16 v34, v34, v63
	v_bfi_b32 v63, 0xffff, v66, v87
	v_bfi_b32 v66, 0xffff, v67, v88
	v_pk_add_f16 v3, v42, v3
	v_bfi_b32 v42, 0xffff, v70, v81
	v_pk_add_f16 v32, v34, v32
	v_fma_f16 v67, v89, 0xbbdd, -v90
	v_pk_add_f16 v34, v63, v66
	v_add_f16_e32 v2, v64, v2
	v_pk_mul_f16 v64, 0x37222de8, v53 op_sel_hi:[1,0]
	v_pk_mul_f16 v66, 0x3b29bbf7, v35 op_sel_hi:[1,0]
	v_pk_fma_f16 v63, 0xb4613b76, v54, v55 op_sel_hi:[1,0,1] neg_lo:[0,0,1] neg_hi:[0,0,1]
	v_pk_add_f16 v32, v34, v32
	v_pk_add_f16 v34, v36, v42
	v_bfi_b32 v36, 0xffff, v72, v91
	v_bfi_b32 v42, 0xffff, v73, v92
	;; [unrolled: 1-line block ×3, first 2 shown]
	v_pk_add_f16 v3, v63, v3
	v_pk_add_f16 v34, v34, v32
	v_add_f16_e32 v32, v67, v40
	v_pk_add_f16 v36, v36, v42
	v_bfi_b32 v42, 0xffff, v76, v50
	v_bfi_b32 v50, 0xffff, v77, v55
	;; [unrolled: 1-line block ×3, first 2 shown]
	v_add_f16_e32 v63, v64, v66
	v_pk_add_f16 v34, v36, v34
	v_pk_mul_f16 v55, 0x35c8b836, v1 op_sel_hi:[1,0]
	v_pk_add_f16 v36, v42, v50
	v_pk_mul_f16 v42, 0xbbb2bbf7, v46 op_sel_hi:[1,0]
	v_pk_mul_f16 v50, 0x3b76bacd, v89 op_sel_hi:[1,0]
	v_pk_fma_f16 v69, 0x37222de8, v53, v66 op_sel_hi:[1,0,1] neg_lo:[0,0,1] neg_hi:[0,0,1]
	v_add_f16_e32 v2, v63, v2
	v_pk_add_f16 v34, v36, v34
	v_pk_add_f16 v36, v39, v40
	v_fma_f16 v39, v62, 0x2de8, -v42
	v_pk_fma_f16 v40, 0xb4612de8, v62, v42 op_sel_hi:[1,0,1]
	v_pk_mul_f16 v42, 0x3836b1e1, v44 op_sel_hi:[1,0]
	v_bfi_b32 v63, 0xffff, v86, v50
	v_bfi_b32 v64, 0xffff, v90, v55
	v_add_f16_e32 v39, v39, v61
	v_pk_add_f16 v40, v40, v0 op_sel:[0,1]
	v_fma_f16 v61, v60, 0xbbdd, -v42
	v_pk_fma_f16 v42, 0xbacdbbdd, v60, v42 op_sel_hi:[1,0,1]
	v_pk_mul_f16 v66, 0x39643bb2, v43 op_sel_hi:[1,0]
	v_pk_add_f16 v34, v36, v34
	v_pk_add_f16 v36, v63, v64
	v_add_f16_e32 v39, v61, v39
	v_pk_add_f16 v40, v42, v40
	v_fma_f16 v42, v59, 0xb461, -v66
	v_pk_fma_f16 v61, 0x39e9b461, v59, v66 op_sel_hi:[1,0,1]
	v_pk_mul_f16 v63, 0xbb2935c8, v41 op_sel_hi:[1,0]
	v_pk_add_f16 v64, v36, v34
	v_add_f16_e32 v34, v50, v55
	v_add_f16_e32 v36, v42, v39
	v_pk_add_f16 v39, v61, v40
	v_fma_f16 v40, v58, 0x3b76, -v63
	v_pk_fma_f16 v42, 0x37223b76, v58, v63 op_sel_hi:[1,0,1]
	v_pk_mul_f16 v50, 0xb1e1bb29, v38 op_sel_hi:[1,0]
	v_pk_add_f16 v3, v69, v3
	v_pk_fma_f16 v55, 0x3b76bacd, v89, v55 op_sel_hi:[1,0,1] neg_lo:[0,0,1] neg_hi:[0,0,1]
	v_add_f16_e32 v2, v34, v2
	v_add_f16_e32 v34, v40, v36
	v_pk_add_f16 v36, v42, v39
	v_fma_f16 v39, v56, 0x3722, -v50
	v_pk_fma_f16 v40, 0xbbdd3722, v56, v50 op_sel_hi:[1,0,1]
	v_pk_mul_f16 v50, 0x3bf7b836, v37 op_sel_hi:[1,0]
	v_pk_add_f16 v3, v55, v3
	v_pk_mul_f16 v61, 0xb5c83a62, v35 op_sel_hi:[1,0]
	v_add_f16_e32 v34, v39, v34
	v_pk_add_f16 v36, v40, v36
	v_fma_f16 v55, v54, 0xbacd, -v50
	v_pk_fma_f16 v50, 0x2de8bacd, v54, v50 op_sel_hi:[1,0,1]
	v_pk_mul_f16 v67, 0xb8d239e9, v89 op_sel_hi:[1,0]
	v_pk_mul_f16 v69, 0xba623964, v1 op_sel_hi:[1,0]
	;; [unrolled: 1-line block ×3, first 2 shown]
	v_add_f16_e32 v34, v55, v34
	v_pk_add_f16 v36, v50, v36
	v_fma_f16 v50, v53, 0xb8d2, -v61
	v_pk_mul_f16 v40, 0x3b293bb2, v44 op_sel_hi:[1,0]
	v_pk_fma_f16 v39, 0xbacdb8d2, v62, v42 op_sel_hi:[1,0,1]
	v_pk_mul_f16 v46, 0x3bb23a62, v46 op_sel_hi:[1,0]
	v_mul_f16_e32 v51, 0x3b76, v60
	v_add_f16_e32 v34, v50, v34
	v_sub_f16_e32 v50, v67, v69
	v_pk_add_f16 v39, v39, v0 op_sel:[0,1]
	v_pk_fma_f16 v63, 0x3722b461, v60, v40 op_sel_hi:[1,0,1]
	v_pk_mul_f16 v66, 0xbbf7b5c8, v43 op_sel_hi:[1,0]
	v_pk_mul_f16 v72, 0x3722b461, v60 op_sel_hi:[1,0]
	v_add_f16_e32 v50, v50, v34
	v_pk_mul_f16 v34, 0xbacdb8d2, v62 op_sel_hi:[1,0]
	v_pk_fma_f16 v46, 0xb461b8d2, v62, v46 op_sel_hi:[1,0,1]
	v_pk_mul_f16 v44, 0xb836bbb2, v44 op_sel_hi:[1,0]
	v_bfi_b32 v42, 0xffff, v57, v42
	v_mul_f16_e32 v48, 0xbacd, v59
	v_bfi_b32 v34, 0xffff, v52, v34
	v_pk_add_f16 v39, v63, v39
	v_pk_fma_f16 v55, 0x2de83b76, v59, v66 op_sel_hi:[1,0,1]
	v_pk_mul_f16 v63, 0x3a62b836, v41 op_sel_hi:[1,0]
	v_pk_mul_f16 v73, 0x2de83b76, v59 op_sel_hi:[1,0]
	v_pk_add_f16 v46, v46, v0 op_sel:[0,1]
	v_pk_fma_f16 v44, 0xbacdb461, v60, v44 op_sel_hi:[1,0,1]
	v_pk_mul_f16 v43, 0xb96435c8, v43 op_sel_hi:[1,0]
	v_pk_add_f16 v34, v34, v42 neg_lo:[0,1] neg_hi:[0,1]
	v_bfi_b32 v42, 0xffff, v51, v72
	v_bfi_b32 v40, 0xffff, v65, v40
	v_mul_f16_e32 v47, 0x39e9, v58
	v_pk_fma_f16 v61, 0x3b76b8d2, v53, v61 op_sel_hi:[1,0,1]
	v_pk_add_f16 v39, v55, v39
	v_pk_fma_f16 v55, 0xb8d2bacd, v58, v63 op_sel_hi:[1,0,1]
	v_pk_mul_f16 v70, 0xb5c83bf7, v38 op_sel_hi:[1,0]
	v_pk_mul_f16 v76, 0xb8d2bacd, v58 op_sel_hi:[1,0]
	v_pk_add_f16 v44, v44, v46
	v_pk_fma_f16 v43, 0x39e93b76, v59, v43 op_sel_hi:[1,0,1]
	v_pk_mul_f16 v41, 0x3b293836, v41 op_sel_hi:[1,0]
	v_pk_add_f16 v0, v34, v0 op_sel:[0,1]
	v_pk_add_f16 v34, v42, v40 neg_lo:[0,1] neg_hi:[0,1]
	v_bfi_b32 v40, 0xffff, v48, v73
	v_bfi_b32 v42, 0xffff, v68, v66
	v_mul_f16_e32 v74, 0xb8d2, v56
	v_pk_add_f16 v36, v61, v36
	v_pk_add_f16 v39, v55, v39
	v_pk_fma_f16 v55, 0x3b762de8, v56, v70 op_sel_hi:[1,0,1]
	v_pk_mul_f16 v61, 0xb1e1b964, v37 op_sel_hi:[1,0]
	v_pk_mul_f16 v77, 0x3b762de8, v56 op_sel_hi:[1,0]
	v_pk_add_f16 v43, v43, v44
	v_pk_fma_f16 v41, 0x3722bacd, v58, v41 op_sel_hi:[1,0,1]
	v_pk_mul_f16 v38, 0x31e1bbf7, v38 op_sel_hi:[1,0]
	v_pk_add_f16 v0, v34, v0
	v_pk_add_f16 v34, v40, v42 neg_lo:[0,1] neg_hi:[0,1]
	v_bfi_b32 v40, 0xffff, v47, v76
	v_bfi_b32 v42, 0xffff, v71, v63
	v_mul_f16_e32 v78, 0x3722, v54
	v_pk_fma_f16 v67, 0xb8d239e9, v89, v69 op_sel_hi:[1,0,1]
	v_pk_add_f16 v39, v55, v39
	v_pk_fma_f16 v55, 0xbbdd39e9, v54, v61 op_sel_hi:[1,0,1]
	v_pk_mul_f16 v69, 0x3964b1e1, v35 op_sel_hi:[1,0]
	v_pk_mul_f16 v80, 0xbbdd39e9, v54 op_sel_hi:[1,0]
	v_pk_add_f16 v41, v41, v43
	v_pk_fma_f16 v38, 0xbbdd2de8, v56, v38 op_sel_hi:[1,0,1]
	v_pk_mul_f16 v37, 0xbbf73964, v37 op_sel_hi:[1,0]
	v_pk_add_f16 v0, v34, v0
	v_pk_add_f16 v34, v40, v42 neg_lo:[0,1] neg_hi:[0,1]
	v_bfi_b32 v40, 0xffff, v74, v77
	v_bfi_b32 v42, 0xffff, v75, v70
	v_mul_f16_e32 v85, 0xb461, v53
	v_pk_add_f16 v39, v55, v39
	v_pk_fma_f16 v55, 0x39e9bbdd, v53, v69 op_sel_hi:[1,0,1]
	v_pk_mul_f16 v81, 0x39e9bbdd, v53 op_sel_hi:[1,0]
	v_pk_add_f16 v38, v38, v41
	v_pk_fma_f16 v37, 0x2de839e9, v54, v37 op_sel_hi:[1,0,1]
	v_pk_add_f16 v0, v34, v0
	v_pk_add_f16 v34, v40, v42 neg_lo:[0,1] neg_hi:[0,1]
	v_bfi_b32 v40, 0xffff, v78, v80
	v_bfi_b32 v41, 0xffff, v79, v61
	v_pk_add_f16 v39, v55, v39
	v_pk_mul_f16 v55, 0xb4613722, v89 op_sel_hi:[1,0]
	v_pk_mul_f16 v52, 0xbbb23b29, v1 op_sel_hi:[1,0]
	v_pk_mul_f16 v35, 0x35c831e1, v35 op_sel_hi:[1,0]
	v_pk_add_f16 v37, v37, v38
	v_pk_add_f16 v0, v34, v0
	v_pk_add_f16 v34, v40, v41 neg_lo:[0,1] neg_hi:[0,1]
	v_bfi_b32 v38, 0xffff, v85, v81
	v_bfi_b32 v40, 0xffff, v49, v69
	v_mul_f16_e32 v41, 0x2de8, v89
	v_mul_f16_e32 v43, 0x3bf7, v1
	v_pk_fma_f16 v35, 0x3b76bbdd, v53, v35 op_sel_hi:[1,0,1]
	v_pk_mul_f16 v1, 0x3a62bb29, v1 op_sel_hi:[1,0]
	v_pk_add_f16 v0, v34, v0
	v_pk_add_f16 v34, v38, v40 neg_lo:[0,1] neg_hi:[0,1]
	v_bfi_b32 v38, 0xffff, v41, v55
	v_bfi_b32 v40, 0xffff, v43, v52
	v_pk_add_f16 v37, v35, v37
	v_pk_fma_f16 v1, 0xb8d23722, v89, v1 op_sel_hi:[1,0,1]
	v_fmamk_f16 v41, v89, 0x2de8, v43
	v_pk_add_f16 v0, v34, v0
	v_pk_add_f16 v34, v38, v40 neg_lo:[0,1] neg_hi:[0,1]
	v_pk_fma_f16 v42, 0xb4613722, v89, v52 op_sel_hi:[1,0,1]
	v_pk_add_f16 v1, v1, v37
	v_add_f16_e32 v37, v41, v45
	v_pk_add_f16 v35, v67, v36
	v_pk_add_f16 v0, v34, v0
	;; [unrolled: 1-line block ×3, first 2 shown]
	v_alignbit_b32 v34, v2, v64, 16
	v_pack_b32_f16 v33, v33, v64
	v_alignbit_b32 v2, v50, v1, 16
	v_alignbit_b32 v1, v1, v0, 16
	v_pack_b32_f16 v0, v37, v0
	global_wb scope:SCOPE_SE
	s_wait_dscnt 0x0
	s_barrier_signal -1
	s_barrier_wait -1
	global_inv scope:SCOPE_SE
	ds_store_b128 v31, v[33:36]
	ds_store_b128 v31, v[0:3] offset:16
	ds_store_b16 v31, v32 offset:32
	global_wb scope:SCOPE_SE
	s_wait_dscnt 0x0
	s_barrier_signal -1
	s_barrier_wait -1
	global_inv scope:SCOPE_SE
	ds_load_u16 v1, v9
	ds_load_u16 v45, v9 offset:2312
	ds_load_u16 v35, v9 offset:1972
	;; [unrolled: 1-line block ×13, first 2 shown]
                                        ; implicit-def: $vgpr40
                                        ; implicit-def: $vgpr38
                                        ; implicit-def: $vgpr43
                                        ; implicit-def: $vgpr44
	s_and_saveexec_b32 s1, s0
	s_cbranch_execz .LBB0_15
; %bb.14:
	ds_load_u16 v3, v9 offset:476
	ds_load_u16 v32, v9 offset:1632
	;; [unrolled: 1-line block ×4, first 2 shown]
	s_wait_dscnt 0x3
	ds_load_u16_d16_hi v3, v9 offset:1054
	ds_load_u16 v44, v9 offset:2210
	ds_load_u16 v43, v9 offset:3366
.LBB0_15:
	s_wait_alu 0xfffe
	s_or_b32 exec_lo, exec_lo, s1
	v_and_b32_e32 v2, 0xff, v8
	v_add_nc_u16 v31, v8, 0x77
	v_add_nc_u32_e32 v34, 0xee, v8
	s_wait_dscnt 0x2
	v_lshrrev_b32_e32 v78, 16, v3
	v_mul_lo_u16 v2, 0xf1, v2
	v_and_b32_e32 v51, 0xff, v31
	v_and_b32_e32 v52, 0xffff, v34
	s_delay_alu instid0(VALU_DEP_3) | instskip(NEXT) | instid1(VALU_DEP_3)
	v_lshrrev_b16 v2, 12, v2
	v_mul_lo_u16 v51, 0xf1, v51
	s_delay_alu instid0(VALU_DEP_3) | instskip(NEXT) | instid1(VALU_DEP_3)
	v_mul_u32_u24_e32 v52, 0xf0f1, v52
	v_mul_lo_u16 v33, v2, 17
	s_delay_alu instid0(VALU_DEP_3) | instskip(NEXT) | instid1(VALU_DEP_3)
	v_lshrrev_b16 v51, 12, v51
	v_lshrrev_b32_e32 v52, 20, v52
	v_and_b32_e32 v2, 0xffff, v2
	s_delay_alu instid0(VALU_DEP_4) | instskip(NEXT) | instid1(VALU_DEP_4)
	v_sub_nc_u16 v33, v8, v33
	v_mul_lo_u16 v54, v51, 17
	s_delay_alu instid0(VALU_DEP_4) | instskip(NEXT) | instid1(VALU_DEP_4)
	v_mul_lo_u16 v55, v52, 17
	v_mul_u32_u24_e32 v2, 0xee, v2
	s_delay_alu instid0(VALU_DEP_4) | instskip(NEXT) | instid1(VALU_DEP_4)
	v_and_b32_e32 v33, 0xff, v33
	v_sub_nc_u16 v31, v31, v54
	s_delay_alu instid0(VALU_DEP_4) | instskip(NEXT) | instid1(VALU_DEP_3)
	v_sub_nc_u16 v34, v34, v55
	v_mul_u32_u24_e32 v53, 6, v33
	s_delay_alu instid0(VALU_DEP_3) | instskip(NEXT) | instid1(VALU_DEP_3)
	v_and_b32_e32 v31, 0xff, v31
	v_and_b32_e32 v54, 0xffff, v34
	v_lshlrev_b32_e32 v33, 1, v33
	s_delay_alu instid0(VALU_DEP_4) | instskip(SKIP_4) | instid1(VALU_DEP_1)
	v_lshlrev_b32_e32 v53, 2, v53
	s_clause 0x1
	global_load_b128 v[60:63], v53, s[4:5]
	global_load_b64 v[72:73], v53, s[4:5] offset:16
	v_mul_u32_u24_e32 v53, 6, v31
	v_lshlrev_b32_e32 v34, 2, v53
	v_mul_u32_u24_e32 v53, 6, v54
	global_load_b128 v[64:67], v34, s[4:5]
	v_lshlrev_b32_e32 v53, 2, v53
	s_clause 0x2
	global_load_b64 v[74:75], v34, s[4:5] offset:16
	global_load_b128 v[68:71], v53, s[4:5]
	global_load_b64 v[76:77], v53, s[4:5] offset:16
	v_and_b32_e32 v34, 0xffff, v51
	v_lshlrev_b32_e32 v53, 1, v31
	v_mul_lo_u16 v31, 0x77, v52
	global_wb scope:SCOPE_SE
	s_wait_loadcnt_dscnt 0x0
	s_barrier_signal -1
	v_mul_u32_u24_e32 v51, 0xee, v34
	v_add3_u32 v34, 0, v2, v33
	v_lshlrev_b32_e32 v2, 1, v54
	s_barrier_wait -1
	global_inv scope:SCOPE_SE
	v_add3_u32 v33, 0, v51, v53
	v_lshrrev_b32_e32 v51, 16, v60
	v_lshrrev_b32_e32 v53, 16, v61
	;; [unrolled: 1-line block ×6, first 2 shown]
	v_mul_f16_e32 v58, v50, v51
	v_mul_f16_e32 v52, v30, v51
	;; [unrolled: 1-line block ×12, first 2 shown]
	v_lshrrev_b32_e32 v83, 16, v64
	v_lshrrev_b32_e32 v84, 16, v65
	;; [unrolled: 1-line block ×12, first 2 shown]
	v_fma_f16 v59, v30, v60, -v58
	v_fmac_f16_e32 v52, v50, v60
	v_fma_f16 v58, v28, v61, -v79
	v_fmac_f16_e32 v53, v48, v61
	;; [unrolled: 2-line block ×6, first 2 shown]
	v_mul_f16_e32 v56, v41, v83
	v_mul_f16_e32 v46, v18, v83
	;; [unrolled: 1-line block ×22, first 2 shown]
	v_fma_f16 v56, v18, v64, -v56
	v_fmac_f16_e32 v46, v41, v64
	v_fma_f16 v41, v16, v65, -v72
	v_fmac_f16_e32 v47, v37, v65
	v_fmac_f16_e32 v45, v35, v66
	v_fma_f16 v35, v17, v74, -v80
	v_fma_f16 v15, v15, v75, -v81
	v_fmac_f16_e32 v50, v36, v75
	v_fma_f16 v16, v19, v68, -v82
	v_fmac_f16_e32 v27, v32, v69
	v_fma_f16 v18, v21, v71, -v85
	v_fma_f16 v19, v23, v76, -v86
	v_add_f16_e32 v21, v59, v63
	v_add_f16_e32 v23, v58, v62
	;; [unrolled: 1-line block ×3, first 2 shown]
	v_sub_f16_e32 v36, v53, v55
	v_sub_f16_e32 v37, v54, v51
	v_mul_f16_e32 v25, v24, v91
	v_mul_f16_e32 v87, v38, v94
	v_fma_f16 v14, v14, v66, -v73
	v_fma_f16 v22, v22, v67, -v79
	v_fmac_f16_e32 v48, v42, v67
	v_fmac_f16_e32 v49, v39, v74
	v_fma_f16 v17, v24, v70, -v84
	v_fmac_f16_e32 v28, v40, v71
	v_fmac_f16_e32 v29, v43, v76
	;; [unrolled: 1-line block ×3, first 2 shown]
	v_sub_f16_e32 v24, v52, v57
	v_add_f16_e32 v38, v23, v21
	v_sub_f16_e32 v39, v23, v21
	v_sub_f16_e32 v21, v21, v32
	;; [unrolled: 1-line block ×3, first 2 shown]
	v_add_f16_e32 v40, v37, v36
	v_sub_f16_e32 v42, v37, v36
	v_add_f16_e32 v43, v56, v15
	v_add_f16_e32 v64, v41, v35
	v_fmac_f16_e32 v26, v78, v68
	v_fmac_f16_e32 v25, v44, v70
	v_sub_f16_e32 v37, v24, v37
	v_sub_f16_e32 v36, v36, v24
	;; [unrolled: 1-line block ×4, first 2 shown]
	v_add_f16_e32 v66, v14, v22
	v_sub_f16_e32 v67, v48, v45
	v_add_f16_e32 v32, v32, v38
	v_add_f16_e32 v24, v40, v24
	v_mul_f16_e32 v21, 0x3a52, v21
	v_mul_f16_e32 v38, 0x2b26, v23
	;; [unrolled: 1-line block ×3, first 2 shown]
	v_add_f16_e32 v68, v64, v43
	v_fma_f16 v13, v13, v69, -v83
	v_mul_f16_e32 v42, 0x3b00, v36
	v_sub_f16_e32 v69, v64, v43
	v_sub_f16_e32 v43, v43, v66
	;; [unrolled: 1-line block ×3, first 2 shown]
	v_add_f16_e32 v70, v67, v65
	v_sub_f16_e32 v71, v67, v65
	v_sub_f16_e32 v65, v65, v44
	v_add_f16_e32 v12, v12, v32
	v_fmamk_f16 v23, v23, 0x2b26, v21
	v_fma_f16 v38, v39, 0x39e0, -v38
	v_fma_f16 v21, v39, 0xb9e0, -v21
	v_fmamk_f16 v39, v37, 0x3574, v40
	v_fma_f16 v36, v36, 0x3b00, -v40
	v_add_f16_e32 v40, v66, v68
	v_sub_f16_e32 v67, v44, v67
	v_fma_f16 v37, v37, 0xb574, -v42
	v_add_f16_e32 v42, v70, v44
	v_mul_f16_e32 v43, 0x3a52, v43
	v_mul_f16_e32 v44, 0x2b26, v64
	;; [unrolled: 1-line block ×4, first 2 shown]
	v_fmamk_f16 v32, v32, 0xbcab, v12
	v_add_f16_e32 v11, v11, v40
	v_fmac_f16_e32 v39, 0x370e, v24
	v_fmac_f16_e32 v36, 0x370e, v24
	;; [unrolled: 1-line block ×3, first 2 shown]
	v_fmamk_f16 v24, v64, 0x2b26, v43
	v_fma_f16 v44, v69, 0x39e0, -v44
	v_fma_f16 v43, v69, 0xb9e0, -v43
	v_fmamk_f16 v64, v67, 0x3574, v66
	v_fma_f16 v65, v65, 0x3b00, -v66
	v_fma_f16 v66, v67, 0xb574, -v68
	v_add_f16_e32 v23, v23, v32
	v_add_f16_e32 v38, v38, v32
	;; [unrolled: 1-line block ×3, first 2 shown]
	v_fmamk_f16 v32, v40, 0xbcab, v11
	v_fma_f16 v20, v20, v77, -v87
	v_fmac_f16_e32 v64, 0x370e, v42
	v_fmac_f16_e32 v65, 0x370e, v42
	;; [unrolled: 1-line block ×3, first 2 shown]
	v_sub_f16_e32 v67, v38, v36
	v_add_f16_e32 v36, v36, v38
	v_add_f16_e32 v24, v24, v32
	;; [unrolled: 1-line block ×6, first 2 shown]
	v_sub_f16_e32 v21, v21, v37
	v_sub_f16_e32 v23, v23, v39
	v_add_f16_e32 v37, v64, v24
	v_add_f16_e32 v39, v66, v38
	v_sub_f16_e32 v43, v32, v65
	v_add_f16_e32 v32, v65, v32
	v_sub_f16_e32 v38, v38, v66
	v_sub_f16_e32 v24, v24, v64
	ds_store_b16 v34, v12
	ds_store_b16 v34, v40 offset:34
	ds_store_b16 v34, v42 offset:68
	;; [unrolled: 1-line block ×6, first 2 shown]
	ds_store_b16 v33, v11
	ds_store_b16 v33, v37 offset:34
	ds_store_b16 v33, v39 offset:68
	;; [unrolled: 1-line block ×6, first 2 shown]
	s_and_saveexec_b32 s1, s0
	s_cbranch_execz .LBB0_17
; %bb.16:
	v_add_f16_e32 v11, v16, v20
	v_add_f16_e32 v12, v13, v19
	;; [unrolled: 1-line block ×3, first 2 shown]
	v_sub_f16_e32 v23, v26, v30
	v_sub_f16_e32 v24, v28, v25
	;; [unrolled: 1-line block ×3, first 2 shown]
	v_add_f16_e32 v32, v12, v11
	v_sub_f16_e32 v37, v11, v21
	v_sub_f16_e32 v38, v21, v12
	;; [unrolled: 1-line block ×4, first 2 shown]
	v_add_f16_e32 v21, v21, v32
	v_sub_f16_e32 v32, v24, v36
	v_add_f16_e32 v24, v24, v36
	v_sub_f16_e32 v36, v36, v23
	v_mul_f16_e32 v12, 0x3a52, v37
	v_add_f16_e32 v10, v10, v21
	v_mul_f16_e32 v32, 0xb846, v32
	v_add_f16_e32 v23, v24, v23
	v_mul_f16_e32 v40, 0x3b00, v36
	v_fmamk_f16 v24, v38, 0x2b26, v12
	v_mul_f16_e32 v38, 0x2b26, v38
	v_fmamk_f16 v37, v39, 0x3574, v32
	v_fmamk_f16 v21, v21, 0xbcab, v10
	v_fma_f16 v39, v39, 0xb574, -v40
	v_and_b32_e32 v40, 0xffff, v31
	v_fma_f16 v12, v11, 0xb9e0, -v12
	v_fma_f16 v32, v36, 0x3b00, -v32
	;; [unrolled: 1-line block ×3, first 2 shown]
	v_add_f16_e32 v24, v24, v21
	v_lshlrev_b32_e32 v36, 1, v40
	v_fmac_f16_e32 v37, 0x370e, v23
	v_add_f16_e32 v12, v12, v21
	v_fmac_f16_e32 v39, 0x370e, v23
	v_fmac_f16_e32 v32, 0x370e, v23
	v_add_f16_e32 v11, v11, v21
	v_add3_u32 v23, 0, v2, v36
	v_sub_f16_e32 v38, v24, v37
	v_add_f16_e32 v24, v37, v24
	v_sub_f16_e32 v21, v12, v39
	v_add_f16_e32 v12, v39, v12
	;; [unrolled: 2-line block ×3, first 2 shown]
	ds_store_b16 v23, v10
	ds_store_b16 v23, v24 offset:34
	ds_store_b16 v23, v12 offset:68
	;; [unrolled: 1-line block ×6, first 2 shown]
.LBB0_17:
	s_wait_alu 0xfffe
	s_or_b32 exec_lo, exec_lo, s1
	v_add_f16_e32 v10, v52, v57
	v_add_f16_e32 v11, v53, v55
	v_sub_f16_e32 v12, v59, v63
	v_add_f16_e32 v21, v51, v54
	v_sub_f16_e32 v23, v58, v62
	v_sub_f16_e32 v24, v61, v60
	v_add_f16_e32 v32, v11, v10
	v_sub_f16_e32 v36, v11, v10
	v_sub_f16_e32 v10, v10, v21
	;; [unrolled: 1-line block ×3, first 2 shown]
	v_add_f16_e32 v37, v24, v23
	v_add_f16_e32 v21, v21, v32
	v_sub_f16_e32 v32, v24, v23
	v_sub_f16_e32 v23, v23, v12
	;; [unrolled: 1-line block ×3, first 2 shown]
	v_add_f16_e32 v12, v37, v12
	v_add_f16_e32 v1, v1, v21
	v_mul_f16_e32 v10, 0x3a52, v10
	v_mul_f16_e32 v37, 0x2b26, v11
	;; [unrolled: 1-line block ×4, first 2 shown]
	v_fmamk_f16 v21, v21, 0xbcab, v1
	v_fmamk_f16 v11, v11, 0x2b26, v10
	v_fma_f16 v37, v36, 0x39e0, -v37
	v_fma_f16 v10, v36, 0xb9e0, -v10
	v_fmamk_f16 v36, v24, 0x3574, v32
	v_fma_f16 v23, v23, 0x3b00, -v32
	v_fma_f16 v24, v24, 0xb574, -v38
	v_add_f16_e32 v11, v11, v21
	v_add_f16_e32 v32, v37, v21
	;; [unrolled: 1-line block ×3, first 2 shown]
	v_fmac_f16_e32 v36, 0x370e, v12
	v_fmac_f16_e32 v24, 0x370e, v12
	;; [unrolled: 1-line block ×3, first 2 shown]
	v_add_f16_e32 v12, v46, v50
	v_add_f16_e32 v21, v47, v49
	v_sub_f16_e32 v15, v56, v15
	v_sub_f16_e32 v35, v41, v35
	v_add_f16_e32 v51, v23, v32
	v_sub_f16_e32 v32, v32, v23
	v_add_f16_e32 v23, v45, v48
	v_sub_f16_e32 v14, v22, v14
	v_add_f16_e32 v22, v21, v12
	v_sub_f16_e32 v37, v21, v12
	v_sub_f16_e32 v44, v10, v24
	;; [unrolled: 1-line block ×4, first 2 shown]
	v_add_f16_e32 v38, v14, v35
	v_add_f16_e32 v22, v23, v22
	v_sub_f16_e32 v23, v14, v35
	v_sub_f16_e32 v35, v35, v15
	;; [unrolled: 1-line block ×3, first 2 shown]
	v_add_f16_e32 v15, v38, v15
	v_add_f16_e32 v45, v0, v22
	v_mul_f16_e32 v0, 0x3a52, v12
	v_mul_f16_e32 v12, 0x2b26, v21
	;; [unrolled: 1-line block ×4, first 2 shown]
	v_fmamk_f16 v22, v22, 0xbcab, v45
	v_fmamk_f16 v21, v21, 0x2b26, v0
	v_fma_f16 v12, v37, 0x39e0, -v12
	v_fma_f16 v0, v37, 0xb9e0, -v0
	v_fmamk_f16 v46, v14, 0x3574, v23
	v_fma_f16 v23, v35, 0x3b00, -v23
	v_fma_f16 v14, v14, 0xb574, -v38
	v_add_f16_e32 v12, v12, v22
	v_add_f16_e32 v0, v0, v22
	;; [unrolled: 1-line block ×3, first 2 shown]
	v_fmac_f16_e32 v23, 0x370e, v15
	v_fmac_f16_e32 v14, 0x370e, v15
	v_lshl_add_u32 v24, v8, 1, 0
	v_sub_f16_e32 v43, v11, v36
	v_add_f16_e32 v47, v21, v22
	v_fmac_f16_e32 v46, 0x370e, v15
	v_add_f16_e32 v49, v36, v11
	v_sub_f16_e32 v52, v0, v14
	v_add_f16_e32 v53, v23, v12
	v_sub_f16_e32 v54, v12, v23
	v_add_f16_e32 v55, v14, v0
	global_wb scope:SCOPE_SE
	s_wait_dscnt 0x0
	s_barrier_signal -1
	s_barrier_wait -1
	global_inv scope:SCOPE_SE
	ds_load_u16 v21, v24 offset:476
	ds_load_u16 v0, v9
	ds_load_u16 v39, v9 offset:238
	ds_load_u16 v22, v9 offset:714
	;; [unrolled: 1-line block ×15, first 2 shown]
	v_sub_f16_e32 v50, v47, v46
	v_add_f16_e32 v46, v46, v47
	global_wb scope:SCOPE_SE
	s_wait_dscnt 0x0
	s_barrier_signal -1
	s_barrier_wait -1
	global_inv scope:SCOPE_SE
	ds_store_b16 v34, v1
	ds_store_b16 v34, v43 offset:34
	ds_store_b16 v34, v44 offset:68
	;; [unrolled: 1-line block ×6, first 2 shown]
	ds_store_b16 v33, v45
	ds_store_b16 v33, v50 offset:34
	ds_store_b16 v33, v52 offset:68
	;; [unrolled: 1-line block ×6, first 2 shown]
	s_and_saveexec_b32 s1, s0
	s_cbranch_execz .LBB0_19
; %bb.18:
	v_add_f16_e32 v1, v26, v30
	v_add_f16_e32 v26, v27, v29
	v_sub_f16_e32 v16, v16, v20
	v_add_f16_e32 v20, v25, v28
	v_sub_f16_e32 v17, v18, v17
	v_sub_f16_e32 v13, v13, v19
	v_add_f16_e32 v18, v26, v1
	v_sub_f16_e32 v19, v26, v1
	v_sub_f16_e32 v1, v1, v20
	;; [unrolled: 1-line block ×3, first 2 shown]
	v_add_f16_e32 v26, v17, v13
	v_add_f16_e32 v18, v20, v18
	v_sub_f16_e32 v20, v17, v13
	v_mul_f16_e32 v1, 0x3a52, v1
	v_sub_f16_e32 v13, v13, v16
	v_sub_f16_e32 v17, v16, v17
	v_add_f16_e32 v3, v3, v18
	v_add_f16_e32 v16, v26, v16
	v_mul_f16_e32 v26, 0x2b26, v25
	v_mul_f16_e32 v20, 0xb846, v20
	v_fmamk_f16 v25, v25, 0x2b26, v1
	v_fmamk_f16 v18, v18, 0xbcab, v3
	v_mul_f16_e32 v27, 0x3b00, v13
	v_fma_f16 v26, v19, 0x39e0, -v26
	v_fma_f16 v1, v19, 0xb9e0, -v1
	v_fmamk_f16 v19, v17, 0x3574, v20
	v_fma_f16 v13, v13, 0x3b00, -v20
	v_add_f16_e32 v20, v25, v18
	v_and_b32_e32 v25, 0xffff, v31
	v_fma_f16 v17, v17, 0xb574, -v27
	v_add_f16_e32 v26, v26, v18
	v_add_f16_e32 v1, v1, v18
	v_fmac_f16_e32 v19, 0x370e, v16
	v_lshlrev_b32_e32 v18, 1, v25
	v_fmac_f16_e32 v17, 0x370e, v16
	v_fmac_f16_e32 v13, 0x370e, v16
	s_delay_alu instid0(VALU_DEP_4) | instskip(NEXT) | instid1(VALU_DEP_4)
	v_sub_f16_e32 v16, v20, v19
	v_add3_u32 v2, 0, v2, v18
	s_delay_alu instid0(VALU_DEP_4) | instskip(NEXT) | instid1(VALU_DEP_4)
	v_sub_f16_e32 v25, v1, v17
	v_add_f16_e32 v18, v13, v26
	v_sub_f16_e32 v13, v26, v13
	v_add_f16_e32 v1, v17, v1
	v_add_f16_e32 v17, v19, v20
	ds_store_b16 v2, v3
	ds_store_b16 v2, v16 offset:34
	ds_store_b16 v2, v25 offset:68
	;; [unrolled: 1-line block ×6, first 2 shown]
.LBB0_19:
	s_wait_alu 0xfffe
	s_or_b32 exec_lo, exec_lo, s1
	global_wb scope:SCOPE_SE
	s_wait_dscnt 0x0
	s_barrier_signal -1
	s_barrier_wait -1
	global_inv scope:SCOPE_SE
	s_and_saveexec_b32 s0, vcc_lo
	s_cbranch_execz .LBB0_21
; %bb.20:
	v_dual_mov_b32 v2, 0 :: v_dual_lshlrev_b32 v1, 4, v8
	s_delay_alu instid0(VALU_DEP_1) | instskip(NEXT) | instid1(VALU_DEP_1)
	v_lshlrev_b64_e32 v[1:2], 2, v[1:2]
	v_add_co_u32 v1, vcc_lo, s4, v1
	s_wait_alu 0xfffd
	s_delay_alu instid0(VALU_DEP_2)
	v_add_co_ci_u32_e32 v2, vcc_lo, s5, v2, vcc_lo
	v_add_co_u32 v4, vcc_lo, s8, v4
	s_clause 0x3
	global_load_b128 v[45:48], v[1:2], off offset:456
	global_load_b128 v[49:52], v[1:2], off offset:408
	;; [unrolled: 1-line block ×4, first 2 shown]
	ds_load_u16 v3, v9 offset:952
	ds_load_u16 v25, v9 offset:1190
	;; [unrolled: 1-line block ×7, first 2 shown]
	ds_load_u16 v1, v9
	ds_load_u16 v43, v24 offset:476
	ds_load_u16 v44, v9 offset:3808
	;; [unrolled: 1-line block ×9, first 2 shown]
	s_wait_alu 0xfffd
	v_add_co_ci_u32_e32 v5, vcc_lo, s9, v5, vcc_lo
	s_wait_loadcnt 0x3
	v_lshrrev_b32_e32 v8, 16, v48
	s_wait_loadcnt 0x2
	v_lshrrev_b32_e32 v19, 16, v49
	v_lshrrev_b32_e32 v18, 16, v45
	;; [unrolled: 1-line block ×6, first 2 shown]
	s_wait_loadcnt 0x1
	v_lshrrev_b32_e32 v27, 16, v55
	v_lshrrev_b32_e32 v28, 16, v56
	s_wait_loadcnt 0x0
	v_lshrrev_b32_e32 v73, 16, v58
	v_lshrrev_b32_e32 v74, 16, v59
	v_mul_f16_e32 v2, v42, v8
	v_mul_f16_e32 v34, v39, v19
	v_lshrrev_b32_e32 v24, 16, v51
	v_lshrrev_b32_e32 v71, 16, v54
	;; [unrolled: 1-line block ×3, first 2 shown]
	s_wait_dscnt 0xa
	v_mul_f16_e32 v76, v16, v19
	s_wait_dscnt 0x7
	v_mul_f16_e32 v77, v44, v8
	v_mul_f16_e32 v8, v41, v13
	;; [unrolled: 1-line block ×4, first 2 shown]
	s_wait_dscnt 0x6
	v_mul_f16_e32 v79, v64, v13
	v_mul_f16_e32 v13, v40, v17
	s_wait_dscnt 0x5
	v_mul_f16_e32 v81, v65, v17
	v_mul_f16_e32 v17, v38, v18
	;; [unrolled: 1-line block ×3, first 2 shown]
	s_wait_dscnt 0x4
	v_mul_f16_e32 v83, v66, v18
	v_mul_f16_e32 v18, v37, v28
	s_wait_dscnt 0x3
	v_mul_f16_e32 v84, v67, v28
	v_mul_f16_e32 v19, v36, v27
	;; [unrolled: 1-line block ×4, first 2 shown]
	s_wait_dscnt 0x2
	v_mul_f16_e32 v85, v68, v27
	v_mul_f16_e32 v27, v12, v74
	;; [unrolled: 1-line block ×3, first 2 shown]
	v_fmac_f16_e32 v2, v44, v48
	v_fmac_f16_e32 v34, v16, v49
	v_lshrrev_b32_e32 v70, 16, v53
	v_mul_f16_e32 v32, v22, v24
	v_mul_f16_e32 v80, v63, v24
	v_mul_f16_e32 v30, v23, v26
	v_mul_f16_e32 v29, v35, v72
	v_mul_f16_e32 v72, v25, v72
	v_mul_f16_e32 v20, v14, v71
	s_wait_dscnt 0x1
	v_mul_f16_e32 v71, v69, v71
	v_fma_f16 v44, v39, v49, -v76
	v_fma_f16 v16, v42, v48, -v77
	v_fmac_f16_e32 v8, v64, v47
	v_fmac_f16_e32 v33, v43, v50
	v_fma_f16 v43, v21, v50, -v78
	v_fma_f16 v21, v41, v47, -v79
	;; [unrolled: 1-line block ×5, first 2 shown]
	v_fmac_f16_e32 v27, v61, v59
	v_fma_f16 v38, v12, v59, -v74
	v_add_f16_e32 v15, v2, v34
	v_sub_f16_e32 v59, v34, v2
	v_lshrrev_b32_e32 v75, 16, v60
	v_mul_f16_e32 v24, v11, v70
	s_wait_dscnt 0x0
	v_mul_f16_e32 v70, v9, v70
	v_fmac_f16_e32 v13, v65, v46
	v_fmac_f16_e32 v32, v63, v51
	v_fma_f16 v42, v22, v51, -v80
	v_fma_f16 v22, v40, v46, -v81
	;; [unrolled: 1-line block ×3, first 2 shown]
	v_fmac_f16_e32 v28, v31, v58
	v_fmac_f16_e32 v20, v69, v54
	v_fma_f16 v35, v14, v54, -v71
	v_sub_f16_e32 v47, v44, v16
	v_add_f16_e32 v14, v8, v33
	v_add_f16_e32 v12, v16, v44
	v_sub_f16_e32 v58, v33, v8
	v_mul_f16_e32 v82, 0x3b76, v15
	v_mul_f16_e32 v69, 0xb5c8, v59
	;; [unrolled: 1-line block ×4, first 2 shown]
	v_mul_f16_e64 v128, 0xbb29, v59
	v_mul_f16_e64 v149, 0xba62, v59
	v_mul_f16_e32 v26, v10, v75
	v_mul_f16_e32 v75, v62, v75
	v_fmac_f16_e32 v17, v66, v45
	v_fmac_f16_e32 v30, v3, v52
	;; [unrolled: 1-line block ×3, first 2 shown]
	v_fma_f16 v31, v36, v55, -v85
	v_fmac_f16_e32 v24, v9, v53
	v_fma_f16 v36, v11, v53, -v70
	v_sub_f16_e32 v46, v43, v21
	v_add_f16_e32 v9, v13, v32
	v_add_f16_e32 v11, v21, v43
	v_sub_f16_e32 v57, v32, v13
	v_mul_f16_e32 v81, 0x39e9, v14
	v_mul_f16_e32 v66, 0xb964, v58
	;; [unrolled: 1-line block ×6, first 2 shown]
	v_mul_f16_e64 v146, 0xb8d2, v15
	v_mul_f16_e64 v134, 0x3bb2, v58
	v_mul_f16_e32 v93, 0xbbdd, v15
	v_mul_f16_e32 v98, 0xb1e1, v59
	v_fma_f16 v137, 0x35c8, v47, v82
	v_fma_f16 v141, 0x3b76, v12, v69
	;; [unrolled: 1-line block ×6, first 2 shown]
	v_fmac_f16_e32 v18, v67, v56
	v_fma_f16 v25, v37, v56, -v84
	v_fma_f16 v37, v10, v60, -v75
	v_sub_f16_e32 v45, v42, v22
	v_add_f16_e32 v3, v17, v30
	v_add_f16_e32 v10, v22, v42
	v_sub_f16_e32 v87, v30, v17
	v_mul_f16_e32 v74, 0x3722, v9
	v_mul_f16_e32 v65, 0xbb29, v57
	;; [unrolled: 1-line block ×6, first 2 shown]
	v_mul_f16_e64 v132, 0xb461, v14
	v_mul_f16_e64 v133, 0xb5c8, v57
	v_mul_f16_e32 v95, 0x3b76, v14
	v_mul_f16_e32 v100, 0x35c8, v58
	v_fma_f16 v140, 0x3964, v46, v81
	v_fma_f16 v143, 0x39e9, v11, v66
	;; [unrolled: 1-line block ×10, first 2 shown]
	v_fmac_f16_e32 v93, 0xb1e1, v47
	v_fma_f16 v98, v12, 0xbbdd, -v98
	v_add_f16_e64 v137, v1, v137
	v_add_f16_e64 v141, v0, v141
	;; [unrolled: 1-line block ×6, first 2 shown]
	v_fmac_f16_e32 v19, v68, v55
	v_fmac_f16_e32 v26, v62, v60
	v_sub_f16_e32 v60, v41, v23
	v_add_f16_e32 v48, v23, v41
	v_add_f16_e32 v50, v18, v29
	v_sub_f16_e32 v91, v29, v18
	v_mul_f16_e32 v104, 0xbbdd, v9
	v_mul_f16_e64 v148, 0x3b76, v9
	v_mul_f16_e32 v97, 0xbacd, v9
	v_mul_f16_e32 v101, 0xb836, v57
	;; [unrolled: 1-line block ×7, first 2 shown]
	v_mul_f16_e64 v135, 0xb836, v87
	v_fma_f16 v161, 0x3a62, v46, v109
	v_fma_f16 v165, 0xbbb2, v46, v132
	v_fma_f16 v169, 0xb5c8, v46, v95
	v_fma_f16 v171, 0x3b76, v11, v100
	v_fmac_f16_e32 v95, 0x35c8, v46
	v_fma_f16 v100, v11, 0x3b76, -v100
	v_fma_f16 v172, 0x3b29, v45, v74
	v_fma_f16 v173, 0x3722, v10, v65
	;; [unrolled: 1-line block ×6, first 2 shown]
	v_add_f16_e64 v137, v137, v140
	v_add_f16_e64 v141, v141, v143
	;; [unrolled: 1-line block ×10, first 2 shown]
	v_add_f16_e32 v93, v1, v93
	v_add_f16_e32 v98, v0, v98
	v_sub_f16_e32 v61, v40, v25
	v_add_f16_e32 v49, v25, v40
	v_add_f16_e32 v52, v19, v28
	v_sub_f16_e32 v94, v28, v19
	v_mul_f16_e32 v115, 0xb461, v3
	v_mul_f16_e64 v153, 0xbacd, v3
	v_mul_f16_e32 v103, 0x39e9, v3
	v_mul_f16_e32 v114, 0x3964, v87
	;; [unrolled: 1-line block ×7, first 2 shown]
	v_mul_f16_e64 v151, 0x3bf7, v91
	v_fma_f16 v176, 0xb1e1, v45, v104
	v_fma_f16 v178, 0x35c8, v45, v148
	;; [unrolled: 1-line block ×4, first 2 shown]
	v_fmac_f16_e32 v97, 0xb836, v45
	v_fma_f16 v101, v10, 0xbacd, -v101
	v_fma_f16 v182, 0x3bf7, v60, v78
	v_fma_f16 v183, 0x2de8, v48, v71
	;; [unrolled: 1-line block ×6, first 2 shown]
	v_add_f16_e64 v160, v160, v161
	v_add_f16_e64 v164, v164, v165
	;; [unrolled: 1-line block ×4, first 2 shown]
	v_add_f16_e32 v93, v93, v95
	v_add_f16_e32 v98, v98, v100
	v_add_f16_e64 v137, v137, v172
	v_add_f16_e64 v141, v141, v173
	;; [unrolled: 1-line block ×6, first 2 shown]
	v_sub_f16_e32 v62, v39, v31
	v_add_f16_e32 v51, v31, v39
	v_add_f16_e32 v54, v20, v27
	v_sub_f16_e32 v116, v27, v20
	v_mul_f16_e32 v117, 0x39e9, v50
	v_mul_f16_e64 v154, 0x2de8, v50
	v_mul_f16_e32 v106, 0xb8d2, v50
	v_mul_f16_e32 v119, 0xba62, v91
	;; [unrolled: 1-line block ×8, first 2 shown]
	v_fma_f16 v186, 0xbbb2, v60, v115
	v_fma_f16 v140, 0x3836, v60, v153
	;; [unrolled: 1-line block ×4, first 2 shown]
	v_fmac_f16_e32 v103, 0x3964, v60
	v_fma_f16 v161, 0x3bb2, v61, v77
	v_fma_f16 v163, 0xb461, v49, v72
	;; [unrolled: 1-line block ×6, first 2 shown]
	v_add_f16_e64 v160, v160, v176
	v_add_f16_e64 v164, v164, v178
	;; [unrolled: 1-line block ×4, first 2 shown]
	v_add_f16_e32 v93, v93, v97
	v_add_f16_e64 v188, v98, v101
	v_add_f16_e64 v101, v137, v182
	v_add_f16_e64 v141, v141, v183
	v_add_f16_e64 v144, v144, v184
	v_add_f16_e64 v150, v150, v185
	v_add_f16_e64 v162, v162, v187
	v_add_f16_e64 v143, v166, v143
	v_sub_f16_e32 v63, v38, v35
	v_add_f16_e32 v53, v35, v38
	v_add_f16_e32 v56, v24, v26
	v_sub_f16_e32 v113, v26, v24
	v_mul_f16_e32 v120, 0x3b76, v52
	v_mul_f16_e64 v155, 0x39e9, v52
	v_mul_f16_e64 v147, 0xb964, v94
	v_mul_f16_e32 v127, 0x3722, v52
	v_mul_f16_e64 v130, 0x3b29, v94
	v_mul_f16_e32 v75, 0xbacd, v54
	v_mul_f16_e32 v96, 0x3722, v54
	;; [unrolled: 1-line block ×4, first 2 shown]
	v_fma_f16 v169, 0xb964, v61, v117
	v_fma_f16 v95, 0xbbf7, v61, v154
	;; [unrolled: 1-line block ×4, first 2 shown]
	v_fmac_f16_e32 v106, 0xba62, v61
	v_fma_f16 v174, 0x3a62, v62, v76
	v_fma_f16 v175, 0xb8d2, v51, v67
	;; [unrolled: 1-line block ×5, first 2 shown]
	v_add_f16_e64 v160, v160, v186
	v_add_f16_e64 v140, v164, v140
	;; [unrolled: 1-line block ×4, first 2 shown]
	v_add_f16_e32 v93, v93, v103
	v_add_f16_e64 v101, v101, v161
	v_add_f16_e64 v141, v141, v163
	;; [unrolled: 1-line block ×6, first 2 shown]
	v_fma_f16 v143, 0xbacd, v15, v108
	v_sub_f16_e32 v64, v37, v36
	v_add_f16_e32 v55, v36, v37
	v_mul_f16_e32 v68, 0xb836, v116
	v_mul_f16_e32 v122, 0x2de8, v54
	v_mul_f16_e64 v156, 0xbbdd, v54
	v_mul_f16_e64 v152, 0xb1e1, v116
	;; [unrolled: 1-line block ×4, first 2 shown]
	v_mul_f16_e32 v73, 0xbbdd, v56
	v_mul_f16_e32 v90, 0x3b76, v56
	;; [unrolled: 1-line block ×3, first 2 shown]
	v_mul_f16_e64 v131, 0xb836, v113
	v_fma_f16 v178, 0x35c8, v62, v120
	v_fma_f16 v180, 0x3964, v62, v155
	;; [unrolled: 1-line block ×3, first 2 shown]
	v_fmamk_f16 v97, v62, 0xbb29, v127
	v_fma_f16 v98, 0x3722, v51, v130
	v_fmac_f16_e32 v127, 0x3b29, v62
	v_fma_f16 v137, 0x3836, v63, v75
	v_fma_f16 v183, 0xbb29, v63, v96
	;; [unrolled: 1-line block ×4, first 2 shown]
	v_add_f16_e64 v160, v160, v169
	v_add_f16_e64 v95, v140, v95
	;; [unrolled: 1-line block ×5, first 2 shown]
	v_add_f16_e32 v93, v93, v106
	v_add_f16_e64 v101, v101, v174
	v_add_f16_e64 v106, v141, v175
	;; [unrolled: 1-line block ×5, first 2 shown]
	v_mul_f16_e32 v70, 0xb1e1, v113
	v_mul_f16_e32 v112, 0xbacd, v56
	v_mul_f16_e64 v157, 0x3722, v56
	v_mul_f16_e64 v158, 0x3b29, v113
	;; [unrolled: 1-line block ×3, first 2 shown]
	v_fma_f16 v182, 0xbacd, v53, v68
	v_fma_f16 v185, 0x3bf7, v63, v122
	v_fma_f16 v164, 0x31e1, v63, v156
	v_fma_f16 v166, 0xbbdd, v53, v152
	v_fma_f16 v168, 0x3bb2, v63, v136
	v_fma_f16 v170, 0xb461, v53, v138
	v_fmac_f16_e64 v136, 0xbbb2, v63
	v_fmamk_f16 v103, v64, 0x31e1, v73
	v_fma_f16 v163, 0xb5c8, v64, v90
	v_fma_f16 v165, 0x3b76, v55, v80
	;; [unrolled: 1-line block ×3, first 2 shown]
	v_add_f16_e64 v144, v160, v178
	v_add_f16_e64 v95, v95, v180
	;; [unrolled: 1-line block ×5, first 2 shown]
	v_add_f16_e32 v93, v93, v127
	v_add_f16_e64 v101, v101, v137
	v_add_f16_e64 v127, v141, v183
	;; [unrolled: 1-line block ×4, first 2 shown]
	v_mul_f16_e64 v139, 0x2de8, v56
	v_fma_f16 v161, 0xbbdd, v55, v70
	v_fma_f16 v167, 0x3836, v64, v112
	;; [unrolled: 1-line block ×4, first 2 shown]
	v_add_f16_e64 v106, v106, v182
	v_add_f16_e64 v141, v144, v185
	;; [unrolled: 1-line block ×7, first 2 shown]
	v_add_f16_e32 v93, v101, v103
	v_add_f16_e64 v97, v127, v163
	v_add_f16_e64 v98, v137, v165
	;; [unrolled: 1-line block ×3, first 2 shown]
	v_fma_f16 v127, 0x3722, v14, v129
	v_mul_f16_e64 v143, 0xbbf7, v45
	v_fma_f16 v137, v48, 0x39e9, -v114
	v_fma_f16 v172, 0xbbf7, v64, v139
	v_add_f16_e64 v95, v106, v161
	v_add_f16_e64 v100, v141, v167
	;; [unrolled: 1-line block ×5, first 2 shown]
	v_fma_f16 v140, 0x2de8, v9, v143
	v_mul_f16_e64 v144, 0x3a62, v60
	v_add_f16_e64 v141, v188, v137
	v_fma_f16 v145, v49, 0xb8d2, -v119
	v_fmac_f16_e64 v139, 0x3bf7, v64
	v_add_f16_e64 v114, v150, v172
	v_add_f16_e64 v140, v127, v140
	v_fma_f16 v150, 0xb8d2, v3, v144
	v_mul_f16_e64 v137, 0xb5c8, v61
	v_add_f16_e64 v141, v141, v145
	v_fma_f16 v130, v51, 0x3722, -v130
	v_mul_f16_e64 v142, 0x3bf7, v113
	v_add_f16_e64 v127, v136, v139
	v_add_f16_e64 v139, v140, v150
	v_fma_f16 v145, 0x3b76, v50, v137
	v_mul_f16_e64 v136, 0xb1e1, v62
	v_add_f16_e64 v130, v141, v130
	v_fma_f16 v141, v53, 0xb461, -v138
	v_mul_f16_e64 v140, 0xb836, v59
	v_fma_f16 v173, 0x2de8, v55, v142
	v_add_f16_e64 v139, v139, v145
	v_fma_f16 v145, 0xbbdd, v52, v136
	v_add_f16_e64 v130, v130, v141
	v_fma_f16 v150, v12, 0xbacd, -v140
	v_mul_f16_e64 v141, 0x3b29, v58
	v_add_f16_e64 v119, v159, v173
	v_mul_f16_e64 v138, 0x3964, v63
	v_fma_f16 v159, v55, 0x2de8, -v142
	v_add_f16_e64 v160, v139, v145
	v_add_f16_e64 v145, v0, v150
	v_fma_f16 v150, v11, 0x3722, -v141
	v_mul_f16_e64 v142, 0xbbf7, v57
	v_fma_f16 v161, 0x39e9, v54, v138
	v_add_f16_e64 v130, v130, v159
	v_fmac_f16_e64 v146, 0xba62, v47
	v_add_f16_e64 v150, v145, v150
	v_fma_f16 v159, v10, 0x2de8, -v142
	v_mul_f16_e64 v145, 0x3a62, v87
	v_add_f16_e64 v160, v160, v161
	v_add_f16_e64 v161, v1, v146
	v_fmac_f16_e64 v132, 0x3bb2, v46
	v_add_f16_e64 v150, v150, v159
	v_fma_f16 v159, v48, 0xb8d2, -v145
	v_mul_f16_e64 v146, 0xb5c8, v91
	v_mul_f16_e64 v139, 0xbbb2, v64
	v_add_f16_e64 v161, v161, v132
	v_fmac_f16_e64 v148, 0xb5c8, v45
	v_add_f16_e64 v150, v150, v159
	v_fma_f16 v159, v49, 0x3b76, -v146
	v_fma_f16 v149, v12, 0xb8d2, -v149
	v_fma_f16 v162, 0xb461, v56, v139
	v_add_f16_e64 v148, v161, v148
	v_fmac_f16_e64 v153, 0xb836, v60
	v_add_f16_e64 v159, v150, v159
	v_mul_f16_e64 v150, 0xb1e1, v94
	v_add_f16_e64 v149, v0, v149
	v_fma_f16 v134, v11, 0xb461, -v134
	v_add_f16_e64 v132, v160, v162
	v_add_f16_e64 v153, v148, v153
	v_fmac_f16_e64 v154, 0x3bf7, v61
	v_fma_f16 v160, v51, 0xbbdd, -v150
	v_mul_f16_e64 v148, 0x3964, v116
	v_add_f16_e64 v134, v149, v134
	v_fma_f16 v133, v10, 0x3b76, -v133
	v_add_f16_e64 v149, v153, v154
	v_fmac_f16_e64 v155, 0xb964, v62
	v_add_f16_e64 v153, v159, v160
	v_fma_f16 v154, v53, 0x39e9, -v148
	v_add_f16_e64 v133, v134, v133
	v_fma_f16 v134, v48, 0xbacd, -v135
	v_mul_f16_e64 v135, 0xbbb2, v113
	v_add_f16_e64 v149, v149, v155
	v_fmac_f16_e64 v156, 0xb1e1, v63
	v_add_f16_e64 v153, v153, v154
	v_add_f16_e64 v133, v133, v134
	v_fma_f16 v134, v49, 0x2de8, -v151
	v_fma_f16 v151, v55, 0xb461, -v135
	v_mul_f16_e64 v159, 0xbbb2, v47
	v_add_f16_e64 v149, v149, v156
	v_fmac_f16_e64 v157, 0x3b29, v64
	v_add_f16_e64 v154, v133, v134
	v_fma_f16 v147, v51, 0x39e9, -v147
	v_add_f16_e64 v133, v153, v151
	v_fma_f16 v151, 0xb461, v15, v159
	v_mul_f16_e64 v160, 0x3836, v46
	v_add_f16_e64 v134, v149, v157
	v_add_f16_e64 v147, v154, v147
	v_fma_f16 v149, v53, 0xbbdd, -v152
	v_add_f16_e64 v152, v1, v151
	v_fma_f16 v153, 0xbacd, v14, v160
	v_mul_f16_e64 v161, 0x3964, v45
	v_mul_f16_e64 v163, 0xb1e1, v61
	v_add_f16_e64 v147, v147, v149
	v_fma_f16 v149, v55, 0x3722, -v158
	v_add_f16_e64 v153, v152, v153
	v_fma_f16 v155, 0x39e9, v9, v161
	v_mul_f16_e64 v158, 0xbb29, v60
	v_mul_f16_e64 v157, 0xbbb2, v59
	;; [unrolled: 1-line block ×4, first 2 shown]
	v_add_f16_e64 v155, v153, v155
	v_fma_f16 v162, 0x3722, v3, v158
	v_fma_f16 v154, v12, 0xb461, -v157
	v_fma_f16 v166, 0x2de8, v52, v164
	v_mul_f16_e64 v167, 0xb5c8, v63
	v_fma_f16 v156, v11, 0xbacd, -v151
	v_add_f16_e64 v155, v155, v162
	v_fma_f16 v162, 0xbbdd, v50, v163
	v_add_f16_e64 v154, v0, v154
	v_mul_f16_e64 v152, 0x3964, v57
	v_fma_f16 v89, v12, 0x39e9, -v89
	v_add_f16_e32 v44, v0, v44
	v_add_f16_e64 v162, v155, v162
	v_add_f16_e64 v154, v154, v156
	v_fma_f16 v156, v10, 0x39e9, -v152
	v_mul_f16_e64 v153, 0xbb29, v87
	v_fmac_f16_e32 v124, 0xbb29, v47
	v_add_f16_e64 v162, v162, v166
	v_fma_f16 v166, 0x3b76, v54, v167
	v_fmac_f16_e32 v102, 0xb964, v47
	v_fmac_f16_e32 v82, 0xb5c8, v47
	v_fma_f16 v88, v11, 0x2de8, -v88
	v_add_f16_e32 v43, v44, v43
	v_add_f16_e64 v162, v162, v166
	v_mul_f16_e64 v166, 0xbbf7, v47
	v_add_f16_e32 v47, v0, v89
	v_add_f16_e64 v156, v154, v156
	v_fma_f16 v165, v48, 0x3722, -v153
	v_mul_f16_e64 v154, 0xb1e1, v91
	v_fma_f16 v44, v10, 0xb8d2, -v86
	v_add_f16_e32 v47, v47, v88
	v_add_f16_e32 v42, v43, v42
	;; [unrolled: 1-line block ×3, first 2 shown]
	v_add_f16_e64 v156, v156, v165
	v_fma_f16 v165, v49, 0xbbdd, -v154
	v_mul_f16_e64 v155, 0x3bf7, v94
	v_add_f16_e32 v43, v47, v44
	v_fma_f16 v44, v48, 0xbbdd, -v83
	v_add_f16_e32 v41, v42, v41
	v_add_f16_e32 v33, v34, v33
	v_mul_f16_e64 v168, 0xba62, v64
	v_add_f16_e64 v165, v156, v165
	v_fma_f16 v169, v51, 0x2de8, -v155
	v_mul_f16_e64 v156, 0xb5c8, v116
	v_mul_f16_e64 v172, 0xb1e1, v46
	v_fmac_f16_e32 v109, 0xba62, v46
	v_fmac_f16_e32 v99, 0xbbf7, v46
	;; [unrolled: 1-line block ×3, first 2 shown]
	v_add_f16_e32 v46, v1, v82
	v_add_f16_e32 v34, v43, v44
	v_fma_f16 v42, v49, 0xbacd, -v84
	v_add_f16_e32 v40, v41, v40
	v_add_f16_e32 v32, v33, v32
	v_fma_f16 v170, 0xb8d2, v56, v168
	v_add_f16_e64 v165, v165, v169
	v_fma_f16 v169, v53, 0x3b76, -v156
	v_fma_f16 v171, 0x2de8, v15, v166
	v_add_f16_e32 v46, v46, v81
	v_fmac_f16_e32 v74, 0xbb29, v45
	v_add_f16_e32 v33, v34, v42
	v_fma_f16 v34, v51, 0xb461, -v85
	v_add_f16_e32 v39, v40, v39
	v_add_f16_e32 v30, v32, v30
	v_add_f16_e64 v147, v147, v149
	v_add_f16_e64 v149, v162, v170
	;; [unrolled: 1-line block ×4, first 2 shown]
	v_mul_f16_e64 v171, 0x3bb2, v45
	v_fmac_f16_e32 v104, 0x31e1, v45
	v_fmac_f16_e32 v92, 0xba62, v45
	v_add_f16_e32 v45, v46, v74
	v_fmac_f16_e32 v78, 0xbbf7, v60
	v_add_f16_e32 v33, v33, v34
	v_add_f16_e32 v34, v39, v38
	v_add_f16_e32 v29, v30, v29
	v_fma_f16 v30, v12, 0x3b76, -v69
	v_add_f16_e32 v43, v45, v78
	v_fmac_f16_e32 v77, 0xbbb2, v61
	v_add_f16_e32 v34, v34, v37
	v_add_f16_e32 v28, v29, v28
	v_add_f16_e32 v29, v0, v30
	v_fma_f16 v30, v11, 0x39e9, -v66
	;; [unrolled: 6-line block ×5, first 2 shown]
	v_add_f16_e32 v28, v30, v73
	v_fma_f16 v30, v15, 0xbacd, -v108
	v_add_f16_e32 v25, v25, v31
	v_add_f16_e32 v20, v20, v24
	v_add_f16_e32 v24, v26, v27
	v_fma_f16 v26, v51, 0xb8d2, -v67
	v_add_f16_e32 v27, v1, v30
	v_fma_f16 v30, v14, 0x3722, -v129
	v_add_f16_e32 v23, v23, v25
	v_add_f16_e32 v19, v19, v20
	v_add_f16_e32 v20, v24, v26
	v_fma_f16 v24, v53, 0xbacd, -v68
	v_add_f16_e32 v25, v27, v30
	v_fma_f16 v26, v9, 0x2de8, -v143
	v_add_f16_e32 v22, v22, v23
	v_add_f16_e32 v18, v18, v19
	v_add_f16_e32 v19, v20, v24
	v_fma_f16 v20, v55, 0xbbdd, -v70
	v_add_f16_e32 v23, v25, v26
	v_fma_f16 v24, v3, 0xb8d2, -v144
	v_add_f16_e32 v21, v21, v22
	v_add_f16_e32 v17, v17, v18
	v_fmac_f16_e64 v140, 0xbacd, v12
	v_add_f16_e32 v18, v19, v20
	v_fma_f16 v20, v15, 0xb461, -v159
	v_add_f16_e32 v19, v23, v24
	v_fma_f16 v22, v50, 0x3b76, -v137
	v_add_f16_e64 v23, v0, v140
	v_fmac_f16_e64 v141, 0x3722, v11
	v_add_f16_e32 v16, v16, v21
	v_add_f16_e32 v20, v1, v20
	v_fma_f16 v21, v14, 0xbacd, -v160
	v_add_f16_e32 v19, v19, v22
	v_add_f16_e64 v22, v23, v141
	v_fmac_f16_e64 v142, 0x2de8, v10
	v_fma_f16 v23, v52, 0xbbdd, -v136
	v_add_f16_e32 v20, v20, v21
	v_fma_f16 v21, v9, 0x39e9, -v161
	v_add_f16_e32 v13, v13, v17
	v_add_f16_e64 v17, v22, v142
	v_fmac_f16_e64 v145, 0xb8d2, v48
	v_add_f16_e32 v19, v19, v23
	v_add_f16_e32 v20, v20, v21
	v_fma_f16 v21, v3, 0x3722, -v158
	v_fma_f16 v22, v54, 0x39e9, -v138
	v_add_f16_e64 v17, v17, v145
	v_fmac_f16_e64 v146, 0x3b76, v49
	v_add_f16_e32 v8, v8, v13
	v_add_f16_e32 v13, v20, v21
	v_fma_f16 v20, v50, 0xbbdd, -v163
	v_mul_f16_e64 v165, 0xbbf7, v59
	v_add_f16_e32 v19, v19, v22
	v_add_f16_e64 v17, v17, v146
	v_fmac_f16_e64 v150, 0xbbdd, v51
	v_fma_f16 v21, v56, 0xb461, -v139
	v_add_f16_e32 v13, v13, v20
	v_fma_f16 v20, v52, 0x2de8, -v164
	v_fma_f16 v15, v15, 0x2de8, -v166
	v_fma_f16 v170, 0xbbdd, v14, v172
	v_fma_f16 v173, v12, 0x2de8, -v165
	v_mul_f16_e32 v58, 0xb1e1, v58
	v_fma_f16 v128, v12, 0x3722, -v128
	v_add_f16_e32 v124, v1, v124
	v_add_f16_e32 v102, v1, v102
	v_add_f16_e32 v2, v2, v8
	v_add_f16_e64 v8, v17, v150
	v_add_f16_e32 v17, v19, v21
	v_add_f16_e32 v13, v13, v20
	v_fma_f16 v19, v54, 0x3b76, -v167
	v_fmac_f16_e64 v157, 0xb461, v12
	v_add_f16_e32 v1, v1, v15
	v_fma_f16 v14, v14, 0xbbdd, -v172
	v_fmac_f16_e64 v165, 0x2de8, v12
	v_add_f16_e64 v169, v169, v170
	v_fma_f16 v170, 0xb461, v9, v171
	v_mul_f16_e64 v174, 0x35c8, v60
	v_add_f16_e64 v173, v0, v173
	v_fma_f16 v175, v11, 0xbbdd, -v58
	v_mul_f16_e32 v57, 0x3bb2, v57
	v_add_f16_e64 v128, v0, v128
	v_add_f16_e32 v13, v13, v19
	v_add_f16_e64 v19, v0, v157
	v_add_f16_e32 v1, v1, v14
	v_fma_f16 v9, v9, 0xb461, -v171
	v_add_f16_e64 v0, v0, v165
	v_fmac_f16_e32 v58, 0xbbdd, v11
	v_fma_f16 v125, v11, 0xb8d2, -v125
	v_add_f16_e64 v169, v169, v170
	v_fma_f16 v170, 0x3b76, v3, v174
	v_mul_f16_e64 v176, 0xbb29, v61
	v_add_f16_e64 v173, v173, v175
	v_fma_f16 v175, v10, 0xb461, -v57
	v_mul_f16_e32 v87, 0x35c8, v87
	v_add_f16_e32 v99, v102, v99
	v_add_f16_e32 v1, v1, v9
	v_fma_f16 v3, v3, 0x3b76, -v174
	v_add_f16_e32 v0, v0, v58
	v_fmac_f16_e32 v57, 0xb461, v10
	v_add_f16_e32 v109, v124, v109
	v_add_f16_e64 v124, v128, v125
	v_fma_f16 v111, v10, 0xbbdd, -v111
	v_fmac_f16_e64 v151, 0xbacd, v11
	v_mul_f16_e64 v177, 0xb836, v62
	v_add_f16_e64 v173, v173, v175
	v_fma_f16 v175, v48, 0x3b76, -v87
	v_mul_f16_e32 v91, 0xbb29, v91
	v_add_f16_e32 v92, v99, v92
	v_fmac_f16_e32 v105, 0xb1e1, v60
	v_add_f16_e32 v1, v1, v3
	v_fma_f16 v3, v50, 0x3722, -v176
	v_add_f16_e32 v0, v0, v57
	v_fmac_f16_e32 v87, 0x3b76, v48
	v_add_f16_e32 v104, v109, v104
	v_fmac_f16_e32 v115, 0x3bb2, v60
	v_add_f16_e32 v109, v124, v111
	v_fma_f16 v111, v48, 0xb461, -v118
	v_add_f16_e64 v169, v169, v170
	v_fma_f16 v170, 0x3722, v50, v176
	v_add_f16_e64 v12, v19, v151
	v_fmac_f16_e64 v152, 0x39e9, v10
	v_mul_f16_e64 v178, 0x3a62, v63
	v_add_f16_e64 v173, v173, v175
	v_fma_f16 v175, v49, 0x3722, -v91
	v_mul_f16_e32 v94, 0xb836, v94
	v_add_f16_e32 v92, v92, v105
	v_fmac_f16_e32 v107, 0x3836, v61
	v_add_f16_e32 v1, v1, v3
	v_fma_f16 v3, v52, 0xbacd, -v177
	v_add_f16_e32 v0, v0, v87
	v_fmac_f16_e32 v91, 0x3722, v49
	v_add_f16_e32 v102, v104, v115
	v_fmac_f16_e32 v117, 0x3964, v61
	v_add_f16_e32 v104, v109, v111
	v_fma_f16 v109, v49, 0x39e9, -v121
	v_add_f16_e64 v169, v169, v170
	v_fma_f16 v170, 0xbacd, v52, v177
	v_add_f16_e64 v11, v12, v152
	;; [unrolled: 18-line block ×3, first 2 shown]
	v_fmac_f16_e64 v154, 0xbbdd, v49
	v_add_f16_e64 v173, v173, v175
	v_fma_f16 v175, v53, 0xb8d2, -v116
	v_add_f16_e32 v92, v92, v110
	v_fmac_f16_e32 v96, 0x3b29, v63
	v_fma_f16 v38, v53, 0x3722, -v79
	v_add_f16_e32 v1, v1, v3
	v_fma_f16 v3, v56, 0x39e9, -v179
	v_add_f16_e32 v0, v0, v94
	v_fmac_f16_e32 v116, 0xb8d2, v53
	v_add_f16_e32 v99, v99, v120
	v_fmac_f16_e32 v122, 0xbbf7, v63
	v_add_f16_e32 v102, v102, v104
	v_fma_f16 v104, v53, 0x2de8, -v126
	v_mul_f16_e32 v59, 0xba62, v113
	v_add_f16_e64 v169, v169, v170
	v_fma_f16 v170, 0x39e9, v56, v179
	v_mul_f16_e32 v113, 0x3964, v113
	v_add_f16_e64 v9, v9, v154
	v_fmac_f16_e64 v155, 0x2de8, v51
	v_add_f16_e32 v92, v92, v96
	v_fmac_f16_e32 v90, 0x35c8, v64
	v_add_f16_e32 v33, v33, v38
	v_fma_f16 v32, v55, 0x3b76, -v80
	v_fmac_f16_e64 v148, 0x39e9, v53
	v_add_f16_e32 v3, v1, v3
	v_add_f16_e32 v11, v0, v116
	v_lshlrev_b64_e32 v[0:1], 2, v[6:7]
	v_add_f16_e32 v99, v99, v122
	v_fmac_f16_e32 v112, 0xb836, v64
	v_add_f16_e32 v102, v102, v104
	v_fma_f16 v104, v55, 0xbacd, -v131
	v_add_f16_e64 v169, v169, v170
	v_add_f16_e64 v170, v173, v175
	v_fma_f16 v173, v55, 0x39e9, -v113
	v_add_f16_e64 v9, v9, v155
	v_fmac_f16_e64 v156, 0x3b76, v53
	v_fma_f16 v180, v55, 0xb8d2, -v59
	v_add_f16_e32 v82, v92, v90
	v_add_f16_e32 v29, v33, v32
	v_add_f16_e64 v8, v8, v148
	v_fmac_f16_e64 v135, 0xb461, v55
	v_add_f16_e32 v99, v99, v112
	v_add_f16_e32 v102, v102, v104
	v_add_co_u32 v0, vcc_lo, v4, v0
	v_add_f16_e64 v105, v170, v173
	v_fma_f16 v15, v56, 0xb8d2, -v168
	v_add_f16_e64 v9, v9, v156
	v_fmac_f16_e32 v59, 0xb8d2, v55
	v_fmac_f16_e32 v113, 0x39e9, v55
	v_add_f16_e64 v162, v162, v180
	s_wait_alu 0xfffd
	v_add_co_ci_u32_e32 v1, vcc_lo, v5, v1, vcc_lo
	v_pack_b32_f16 v2, v16, v2
	v_pack_b32_f16 v4, v18, v28
	v_add_f16_e64 v8, v8, v135
	v_pack_b32_f16 v5, v29, v82
	v_pack_b32_f16 v7, v102, v99
	v_add_f16_e32 v10, v13, v15
	v_add_f16_e32 v9, v9, v59
	;; [unrolled: 1-line block ×3, first 2 shown]
	v_pack_b32_f16 v11, v105, v169
	v_pack_b32_f16 v12, v162, v149
	;; [unrolled: 1-line block ×4, first 2 shown]
	s_clause 0x7
	global_store_b32 v[0:1], v2, off
	global_store_b32 v[0:1], v4, off offset:476
	global_store_b32 v[0:1], v5, off offset:952
	;; [unrolled: 1-line block ×7, first 2 shown]
	v_pack_b32_f16 v2, v130, v127
	v_pack_b32_f16 v4, v119, v114
	;; [unrolled: 1-line block ×9, first 2 shown]
	s_clause 0x8
	global_store_b32 v[0:1], v2, off offset:3808
	global_store_b32 v[0:1], v4, off offset:4284
	;; [unrolled: 1-line block ×9, first 2 shown]
.LBB0_21:
	s_nop 0
	s_sendmsg sendmsg(MSG_DEALLOC_VGPRS)
	s_endpgm
	.section	.rodata,"a",@progbits
	.p2align	6, 0x0
	.amdhsa_kernel fft_rtc_fwd_len2023_factors_17_7_17_wgs_119_tpt_119_halfLds_half_ip_CI_unitstride_sbrr_dirReg
		.amdhsa_group_segment_fixed_size 0
		.amdhsa_private_segment_fixed_size 0
		.amdhsa_kernarg_size 88
		.amdhsa_user_sgpr_count 2
		.amdhsa_user_sgpr_dispatch_ptr 0
		.amdhsa_user_sgpr_queue_ptr 0
		.amdhsa_user_sgpr_kernarg_segment_ptr 1
		.amdhsa_user_sgpr_dispatch_id 0
		.amdhsa_user_sgpr_private_segment_size 0
		.amdhsa_wavefront_size32 1
		.amdhsa_uses_dynamic_stack 0
		.amdhsa_enable_private_segment 0
		.amdhsa_system_sgpr_workgroup_id_x 1
		.amdhsa_system_sgpr_workgroup_id_y 0
		.amdhsa_system_sgpr_workgroup_id_z 0
		.amdhsa_system_sgpr_workgroup_info 0
		.amdhsa_system_vgpr_workitem_id 0
		.amdhsa_next_free_vgpr 189
		.amdhsa_next_free_sgpr 32
		.amdhsa_reserve_vcc 1
		.amdhsa_float_round_mode_32 0
		.amdhsa_float_round_mode_16_64 0
		.amdhsa_float_denorm_mode_32 3
		.amdhsa_float_denorm_mode_16_64 3
		.amdhsa_fp16_overflow 0
		.amdhsa_workgroup_processor_mode 1
		.amdhsa_memory_ordered 1
		.amdhsa_forward_progress 0
		.amdhsa_round_robin_scheduling 0
		.amdhsa_exception_fp_ieee_invalid_op 0
		.amdhsa_exception_fp_denorm_src 0
		.amdhsa_exception_fp_ieee_div_zero 0
		.amdhsa_exception_fp_ieee_overflow 0
		.amdhsa_exception_fp_ieee_underflow 0
		.amdhsa_exception_fp_ieee_inexact 0
		.amdhsa_exception_int_div_zero 0
	.end_amdhsa_kernel
	.text
.Lfunc_end0:
	.size	fft_rtc_fwd_len2023_factors_17_7_17_wgs_119_tpt_119_halfLds_half_ip_CI_unitstride_sbrr_dirReg, .Lfunc_end0-fft_rtc_fwd_len2023_factors_17_7_17_wgs_119_tpt_119_halfLds_half_ip_CI_unitstride_sbrr_dirReg
                                        ; -- End function
	.section	.AMDGPU.csdata,"",@progbits
; Kernel info:
; codeLenInByte = 16916
; NumSgprs: 34
; NumVgprs: 189
; ScratchSize: 0
; MemoryBound: 0
; FloatMode: 240
; IeeeMode: 1
; LDSByteSize: 0 bytes/workgroup (compile time only)
; SGPRBlocks: 4
; VGPRBlocks: 23
; NumSGPRsForWavesPerEU: 34
; NumVGPRsForWavesPerEU: 189
; Occupancy: 8
; WaveLimiterHint : 1
; COMPUTE_PGM_RSRC2:SCRATCH_EN: 0
; COMPUTE_PGM_RSRC2:USER_SGPR: 2
; COMPUTE_PGM_RSRC2:TRAP_HANDLER: 0
; COMPUTE_PGM_RSRC2:TGID_X_EN: 1
; COMPUTE_PGM_RSRC2:TGID_Y_EN: 0
; COMPUTE_PGM_RSRC2:TGID_Z_EN: 0
; COMPUTE_PGM_RSRC2:TIDIG_COMP_CNT: 0
	.text
	.p2alignl 7, 3214868480
	.fill 96, 4, 3214868480
	.type	__hip_cuid_68b411b218a7384e,@object ; @__hip_cuid_68b411b218a7384e
	.section	.bss,"aw",@nobits
	.globl	__hip_cuid_68b411b218a7384e
__hip_cuid_68b411b218a7384e:
	.byte	0                               ; 0x0
	.size	__hip_cuid_68b411b218a7384e, 1

	.ident	"AMD clang version 19.0.0git (https://github.com/RadeonOpenCompute/llvm-project roc-6.4.0 25133 c7fe45cf4b819c5991fe208aaa96edf142730f1d)"
	.section	".note.GNU-stack","",@progbits
	.addrsig
	.addrsig_sym __hip_cuid_68b411b218a7384e
	.amdgpu_metadata
---
amdhsa.kernels:
  - .args:
      - .actual_access:  read_only
        .address_space:  global
        .offset:         0
        .size:           8
        .value_kind:     global_buffer
      - .offset:         8
        .size:           8
        .value_kind:     by_value
      - .actual_access:  read_only
        .address_space:  global
        .offset:         16
        .size:           8
        .value_kind:     global_buffer
      - .actual_access:  read_only
        .address_space:  global
        .offset:         24
        .size:           8
        .value_kind:     global_buffer
      - .offset:         32
        .size:           8
        .value_kind:     by_value
      - .actual_access:  read_only
        .address_space:  global
        .offset:         40
        .size:           8
        .value_kind:     global_buffer
      - .actual_access:  read_only
        .address_space:  global
        .offset:         48
        .size:           8
        .value_kind:     global_buffer
      - .offset:         56
        .size:           4
        .value_kind:     by_value
      - .actual_access:  read_only
        .address_space:  global
        .offset:         64
        .size:           8
        .value_kind:     global_buffer
      - .actual_access:  read_only
        .address_space:  global
        .offset:         72
        .size:           8
        .value_kind:     global_buffer
      - .address_space:  global
        .offset:         80
        .size:           8
        .value_kind:     global_buffer
    .group_segment_fixed_size: 0
    .kernarg_segment_align: 8
    .kernarg_segment_size: 88
    .language:       OpenCL C
    .language_version:
      - 2
      - 0
    .max_flat_workgroup_size: 119
    .name:           fft_rtc_fwd_len2023_factors_17_7_17_wgs_119_tpt_119_halfLds_half_ip_CI_unitstride_sbrr_dirReg
    .private_segment_fixed_size: 0
    .sgpr_count:     34
    .sgpr_spill_count: 0
    .symbol:         fft_rtc_fwd_len2023_factors_17_7_17_wgs_119_tpt_119_halfLds_half_ip_CI_unitstride_sbrr_dirReg.kd
    .uniform_work_group_size: 1
    .uses_dynamic_stack: false
    .vgpr_count:     189
    .vgpr_spill_count: 0
    .wavefront_size: 32
    .workgroup_processor_mode: 1
amdhsa.target:   amdgcn-amd-amdhsa--gfx1201
amdhsa.version:
  - 1
  - 2
...

	.end_amdgpu_metadata
